;; amdgpu-corpus repo=ROCm/rocBLAS kind=compiled arch=gfx90a opt=O3
	.text
	.amdgcn_target "amdgcn-amd-amdhsa--gfx90a"
	.amdhsa_code_object_version 6
	.section	.text._ZL27rocblas_rotm_kernel_batchedILi512EPfPKfEviT0_lllS3_lllT1_lli,"axG",@progbits,_ZL27rocblas_rotm_kernel_batchedILi512EPfPKfEviT0_lllS3_lllT1_lli,comdat
	.globl	_ZL27rocblas_rotm_kernel_batchedILi512EPfPKfEviT0_lllS3_lllT1_lli ; -- Begin function _ZL27rocblas_rotm_kernel_batchedILi512EPfPKfEviT0_lllS3_lllT1_lli
	.p2align	8
	.type	_ZL27rocblas_rotm_kernel_batchedILi512EPfPKfEviT0_lllS3_lllT1_lli,@function
_ZL27rocblas_rotm_kernel_batchedILi512EPfPKfEviT0_lllS3_lllT1_lli: ; @_ZL27rocblas_rotm_kernel_batchedILi512EPfPKfEviT0_lllS3_lllT1_lli
; %bb.0:
	s_load_dword s8, s[4:5], 0x0
	s_load_dwordx2 s[10:11], s[4:5], 0x58
	s_load_dwordx4 s[0:3], s[4:5], 0x48
	s_load_dword s12, s[4:5], 0x74
	v_mov_b32_e32 v1, 0
	s_waitcnt lgkmcnt(0)
	s_ashr_i32 s9, s8, 31
	s_mul_i32 s11, s7, s11
	s_mul_hi_u32 s13, s7, s10
	s_add_i32 s11, s13, s11
	s_mul_i32 s10, s7, s10
	s_lshl_b64 s[10:11], s[10:11], 2
	s_add_u32 s10, s0, s10
	s_addc_u32 s11, s1, s11
	s_lshl_b64 s[0:1], s[2:3], 2
	s_add_u32 s24, s10, s0
	s_addc_u32 s25, s11, s1
	s_load_dwordx4 s[0:3], s[24:25], 0x0
	s_and_b32 s10, s12, 0xffff
	s_mul_i32 s6, s6, s10
	v_add_u32_e32 v0, s6, v0
	v_cmp_gt_i64_e32 vcc, s[8:9], v[0:1]
	s_waitcnt lgkmcnt(0)
	v_cmp_neq_f32_e64 s[8:9], s0, -2.0
	s_and_b64 s[8:9], s[8:9], vcc
	s_and_saveexec_b64 s[10:11], s[8:9]
	s_cbranch_execz .LBB0_9
; %bb.1:
	s_load_dwordx16 s[8:23], s[4:5], 0x8
	s_waitcnt lgkmcnt(0)
	s_mul_i32 s5, s7, s23
	s_mul_hi_u32 s6, s7, s22
	s_mul_i32 s4, s7, s22
	s_add_i32 s5, s6, s5
	s_lshl_b64 s[4:5], s[4:5], 2
	s_add_u32 s6, s16, s4
	s_addc_u32 s16, s17, s5
	s_lshl_b64 s[4:5], s[18:19], 2
	s_mul_i32 s15, s7, s15
	s_add_u32 s6, s6, s4
	s_mul_hi_u32 s4, s7, s14
	s_addc_u32 s16, s16, s5
	s_add_i32 s5, s4, s15
	s_mul_i32 s4, s7, s14
	s_lshl_b64 s[4:5], s[4:5], 2
	s_add_u32 s7, s8, s4
	s_addc_u32 s8, s9, s5
	s_lshl_b64 s[4:5], s[10:11], 2
	s_add_u32 s7, s7, s4
	s_addc_u32 s8, s8, s5
	v_mad_u64_u32 v[2:3], s[4:5], v0, s12, 0
	v_mov_b32_e32 v4, v3
	v_mad_u64_u32 v[4:5], s[4:5], v0, s13, v[4:5]
	v_mad_u64_u32 v[6:7], s[4:5], v0, s20, 0
	v_mov_b32_e32 v3, v4
	v_mov_b32_e32 v4, v7
	v_mad_u64_u32 v[0:1], s[4:5], v0, s21, v[4:5]
	v_mov_b32_e32 v7, v0
	v_lshlrev_b64 v[0:1], 2, v[2:3]
	v_mov_b32_e32 v2, s8
	v_add_co_u32_e32 v0, vcc, s7, v0
	v_addc_co_u32_e32 v1, vcc, v2, v1, vcc
	v_lshlrev_b64 v[2:3], 2, v[6:7]
	v_mov_b32_e32 v5, s16
	v_add_co_u32_e32 v2, vcc, s6, v2
	v_addc_co_u32_e32 v3, vcc, v5, v3, vcc
	global_load_dword v4, v[0:1], off
	global_load_dword v5, v[2:3], off
	s_load_dword s6, s[24:25], 0x10
	v_cmp_nlt_f32_e64 s[4:5], s0, 0
	s_and_b64 vcc, exec, s[4:5]
	s_cbranch_vccz .LBB0_6
; %bb.2:
	v_cmp_neq_f32_e64 s[4:5], s0, 0
	s_and_b64 vcc, exec, s[4:5]
	s_cbranch_vccz .LBB0_10
; %bb.3:
	s_waitcnt vmcnt(0)
	v_fma_f32 v6, s1, v4, v5
	global_store_dword v[0:1], v6, off
	s_waitcnt lgkmcnt(0)
	v_fma_f32 v6, s6, v5, -v4
	s_cbranch_execnz .LBB0_5
.LBB0_4:
	s_waitcnt vmcnt(0)
	v_fma_f32 v6, s3, v5, v4
	global_store_dword v[0:1], v6, off
	v_fma_f32 v6, s2, v4, v5
.LBB0_5:
	s_cbranch_execz .LBB0_7
	s_branch .LBB0_8
.LBB0_6:
                                        ; implicit-def: $vgpr6
.LBB0_7:
	s_waitcnt vmcnt(0)
	v_mul_f32_e32 v6, s3, v5
	v_fmac_f32_e32 v6, s1, v4
	global_store_dword v[0:1], v6, off
	s_waitcnt lgkmcnt(0)
	v_mul_f32_e32 v6, s6, v5
	v_fmac_f32_e32 v6, s2, v4
.LBB0_8:
	global_store_dword v[2:3], v6, off
.LBB0_9:
	s_endpgm
.LBB0_10:
                                        ; implicit-def: $vgpr6
	s_branch .LBB0_4
	.section	.rodata,"a",@progbits
	.p2align	6, 0x0
	.amdhsa_kernel _ZL27rocblas_rotm_kernel_batchedILi512EPfPKfEviT0_lllS3_lllT1_lli
		.amdhsa_group_segment_fixed_size 0
		.amdhsa_private_segment_fixed_size 0
		.amdhsa_kernarg_size 360
		.amdhsa_user_sgpr_count 6
		.amdhsa_user_sgpr_private_segment_buffer 1
		.amdhsa_user_sgpr_dispatch_ptr 0
		.amdhsa_user_sgpr_queue_ptr 0
		.amdhsa_user_sgpr_kernarg_segment_ptr 1
		.amdhsa_user_sgpr_dispatch_id 0
		.amdhsa_user_sgpr_flat_scratch_init 0
		.amdhsa_user_sgpr_kernarg_preload_length 0
		.amdhsa_user_sgpr_kernarg_preload_offset 0
		.amdhsa_user_sgpr_private_segment_size 0
		.amdhsa_uses_dynamic_stack 0
		.amdhsa_system_sgpr_private_segment_wavefront_offset 0
		.amdhsa_system_sgpr_workgroup_id_x 1
		.amdhsa_system_sgpr_workgroup_id_y 0
		.amdhsa_system_sgpr_workgroup_id_z 1
		.amdhsa_system_sgpr_workgroup_info 0
		.amdhsa_system_vgpr_workitem_id 0
		.amdhsa_next_free_vgpr 8
		.amdhsa_next_free_sgpr 26
		.amdhsa_accum_offset 8
		.amdhsa_reserve_vcc 1
		.amdhsa_reserve_flat_scratch 0
		.amdhsa_float_round_mode_32 0
		.amdhsa_float_round_mode_16_64 0
		.amdhsa_float_denorm_mode_32 3
		.amdhsa_float_denorm_mode_16_64 3
		.amdhsa_dx10_clamp 1
		.amdhsa_ieee_mode 1
		.amdhsa_fp16_overflow 0
		.amdhsa_tg_split 0
		.amdhsa_exception_fp_ieee_invalid_op 0
		.amdhsa_exception_fp_denorm_src 0
		.amdhsa_exception_fp_ieee_div_zero 0
		.amdhsa_exception_fp_ieee_overflow 0
		.amdhsa_exception_fp_ieee_underflow 0
		.amdhsa_exception_fp_ieee_inexact 0
		.amdhsa_exception_int_div_zero 0
	.end_amdhsa_kernel
	.section	.text._ZL27rocblas_rotm_kernel_batchedILi512EPfPKfEviT0_lllS3_lllT1_lli,"axG",@progbits,_ZL27rocblas_rotm_kernel_batchedILi512EPfPKfEviT0_lllS3_lllT1_lli,comdat
.Lfunc_end0:
	.size	_ZL27rocblas_rotm_kernel_batchedILi512EPfPKfEviT0_lllS3_lllT1_lli, .Lfunc_end0-_ZL27rocblas_rotm_kernel_batchedILi512EPfPKfEviT0_lllS3_lllT1_lli
                                        ; -- End function
	.section	.AMDGPU.csdata,"",@progbits
; Kernel info:
; codeLenInByte = 492
; NumSgprs: 30
; NumVgprs: 8
; NumAgprs: 0
; TotalNumVgprs: 8
; ScratchSize: 0
; MemoryBound: 0
; FloatMode: 240
; IeeeMode: 1
; LDSByteSize: 0 bytes/workgroup (compile time only)
; SGPRBlocks: 3
; VGPRBlocks: 0
; NumSGPRsForWavesPerEU: 30
; NumVGPRsForWavesPerEU: 8
; AccumOffset: 8
; Occupancy: 8
; WaveLimiterHint : 1
; COMPUTE_PGM_RSRC2:SCRATCH_EN: 0
; COMPUTE_PGM_RSRC2:USER_SGPR: 6
; COMPUTE_PGM_RSRC2:TRAP_HANDLER: 0
; COMPUTE_PGM_RSRC2:TGID_X_EN: 1
; COMPUTE_PGM_RSRC2:TGID_Y_EN: 0
; COMPUTE_PGM_RSRC2:TGID_Z_EN: 1
; COMPUTE_PGM_RSRC2:TIDIG_COMP_CNT: 0
; COMPUTE_PGM_RSRC3_GFX90A:ACCUM_OFFSET: 1
; COMPUTE_PGM_RSRC3_GFX90A:TG_SPLIT: 0
	.section	.text._ZL27rocblas_rotm_kernel_regularILi512EffEviPT0_lllS1_lllT1_S2_S2_S2_S2_,"axG",@progbits,_ZL27rocblas_rotm_kernel_regularILi512EffEviPT0_lllS1_lllT1_S2_S2_S2_S2_,comdat
	.globl	_ZL27rocblas_rotm_kernel_regularILi512EffEviPT0_lllS1_lllT1_S2_S2_S2_S2_ ; -- Begin function _ZL27rocblas_rotm_kernel_regularILi512EffEviPT0_lllS1_lllT1_S2_S2_S2_S2_
	.p2align	8
	.type	_ZL27rocblas_rotm_kernel_regularILi512EffEviPT0_lllS1_lllT1_S2_S2_S2_S2_,@function
_ZL27rocblas_rotm_kernel_regularILi512EffEviPT0_lllS1_lllT1_S2_S2_S2_S2_: ; @_ZL27rocblas_rotm_kernel_regularILi512EffEviPT0_lllS1_lllT1_S2_S2_S2_S2_
; %bb.0:
	s_load_dword s8, s[4:5], 0x0
	s_load_dword s7, s[4:5], 0x6c
	s_load_dwordx4 s[0:3], s[4:5], 0x48
	v_mov_b32_e32 v1, 0
	s_waitcnt lgkmcnt(0)
	s_ashr_i32 s9, s8, 31
	s_and_b32 s7, s7, 0xffff
	s_mul_i32 s6, s6, s7
	v_add_u32_e32 v0, s6, v0
	v_cmp_gt_i64_e32 vcc, s[8:9], v[0:1]
	v_cmp_neq_f32_e64 s[6:7], s0, -2.0
	s_and_b64 s[6:7], s[6:7], vcc
	s_and_saveexec_b64 s[8:9], s[6:7]
	s_cbranch_execz .LBB1_9
; %bb.1:
	s_load_dwordx4 s[8:11], s[4:5], 0x28
	s_load_dwordx4 s[12:15], s[4:5], 0x8
	s_load_dwordx2 s[6:7], s[4:5], 0x18
	s_load_dwordx2 s[16:17], s[4:5], 0x38
	s_waitcnt lgkmcnt(0)
	s_lshl_b64 s[10:11], s[10:11], 2
	s_add_u32 s10, s8, s10
	s_addc_u32 s11, s9, s11
	s_lshl_b64 s[8:9], s[14:15], 2
	s_add_u32 s12, s12, s8
	s_addc_u32 s13, s13, s9
	v_mad_u64_u32 v[2:3], s[8:9], v0, s6, 0
	v_mov_b32_e32 v4, v3
	v_mad_u64_u32 v[4:5], s[6:7], v0, s7, v[4:5]
	v_mad_u64_u32 v[6:7], s[6:7], v0, s16, 0
	v_mov_b32_e32 v3, v4
	v_mov_b32_e32 v4, v7
	v_mad_u64_u32 v[0:1], s[6:7], v0, s17, v[4:5]
	v_mov_b32_e32 v7, v0
	v_lshlrev_b64 v[0:1], 2, v[2:3]
	v_mov_b32_e32 v2, s13
	v_add_co_u32_e32 v0, vcc, s12, v0
	v_addc_co_u32_e32 v1, vcc, v2, v1, vcc
	v_lshlrev_b64 v[2:3], 2, v[6:7]
	v_mov_b32_e32 v5, s11
	v_add_co_u32_e32 v2, vcc, s10, v2
	v_addc_co_u32_e32 v3, vcc, v5, v3, vcc
	global_load_dword v4, v[0:1], off
	global_load_dword v5, v[2:3], off
	s_load_dword s6, s[4:5], 0x58
	v_cmp_nlt_f32_e64 s[4:5], s0, 0
	s_and_b64 vcc, exec, s[4:5]
	s_cbranch_vccz .LBB1_6
; %bb.2:
	v_cmp_neq_f32_e64 s[4:5], s0, 0
	s_and_b64 vcc, exec, s[4:5]
	s_cbranch_vccz .LBB1_10
; %bb.3:
	s_waitcnt vmcnt(0)
	v_fma_f32 v6, s1, v4, v5
	global_store_dword v[0:1], v6, off
	s_waitcnt lgkmcnt(0)
	v_fma_f32 v6, v5, s6, -v4
	s_cbranch_execnz .LBB1_5
.LBB1_4:
	s_waitcnt vmcnt(0)
	v_fma_f32 v6, s3, v5, v4
	global_store_dword v[0:1], v6, off
	v_fma_f32 v6, s2, v4, v5
.LBB1_5:
	s_cbranch_execz .LBB1_7
	s_branch .LBB1_8
.LBB1_6:
                                        ; implicit-def: $vgpr6
.LBB1_7:
	s_waitcnt vmcnt(0)
	v_mul_f32_e32 v6, s3, v5
	v_fmac_f32_e32 v6, s1, v4
	global_store_dword v[0:1], v6, off
	s_waitcnt lgkmcnt(0)
	v_mul_f32_e32 v6, s6, v5
	v_fmac_f32_e32 v6, s2, v4
.LBB1_8:
	global_store_dword v[2:3], v6, off
.LBB1_9:
	s_endpgm
.LBB1_10:
                                        ; implicit-def: $vgpr6
	s_branch .LBB1_4
	.section	.rodata,"a",@progbits
	.p2align	6, 0x0
	.amdhsa_kernel _ZL27rocblas_rotm_kernel_regularILi512EffEviPT0_lllS1_lllT1_S2_S2_S2_S2_
		.amdhsa_group_segment_fixed_size 0
		.amdhsa_private_segment_fixed_size 0
		.amdhsa_kernarg_size 352
		.amdhsa_user_sgpr_count 6
		.amdhsa_user_sgpr_private_segment_buffer 1
		.amdhsa_user_sgpr_dispatch_ptr 0
		.amdhsa_user_sgpr_queue_ptr 0
		.amdhsa_user_sgpr_kernarg_segment_ptr 1
		.amdhsa_user_sgpr_dispatch_id 0
		.amdhsa_user_sgpr_flat_scratch_init 0
		.amdhsa_user_sgpr_kernarg_preload_length 0
		.amdhsa_user_sgpr_kernarg_preload_offset 0
		.amdhsa_user_sgpr_private_segment_size 0
		.amdhsa_uses_dynamic_stack 0
		.amdhsa_system_sgpr_private_segment_wavefront_offset 0
		.amdhsa_system_sgpr_workgroup_id_x 1
		.amdhsa_system_sgpr_workgroup_id_y 0
		.amdhsa_system_sgpr_workgroup_id_z 0
		.amdhsa_system_sgpr_workgroup_info 0
		.amdhsa_system_vgpr_workitem_id 0
		.amdhsa_next_free_vgpr 8
		.amdhsa_next_free_sgpr 18
		.amdhsa_accum_offset 8
		.amdhsa_reserve_vcc 1
		.amdhsa_reserve_flat_scratch 0
		.amdhsa_float_round_mode_32 0
		.amdhsa_float_round_mode_16_64 0
		.amdhsa_float_denorm_mode_32 3
		.amdhsa_float_denorm_mode_16_64 3
		.amdhsa_dx10_clamp 1
		.amdhsa_ieee_mode 1
		.amdhsa_fp16_overflow 0
		.amdhsa_tg_split 0
		.amdhsa_exception_fp_ieee_invalid_op 0
		.amdhsa_exception_fp_denorm_src 0
		.amdhsa_exception_fp_ieee_div_zero 0
		.amdhsa_exception_fp_ieee_overflow 0
		.amdhsa_exception_fp_ieee_underflow 0
		.amdhsa_exception_fp_ieee_inexact 0
		.amdhsa_exception_int_div_zero 0
	.end_amdhsa_kernel
	.section	.text._ZL27rocblas_rotm_kernel_regularILi512EffEviPT0_lllS1_lllT1_S2_S2_S2_S2_,"axG",@progbits,_ZL27rocblas_rotm_kernel_regularILi512EffEviPT0_lllS1_lllT1_S2_S2_S2_S2_,comdat
.Lfunc_end1:
	.size	_ZL27rocblas_rotm_kernel_regularILi512EffEviPT0_lllS1_lllT1_S2_S2_S2_S2_, .Lfunc_end1-_ZL27rocblas_rotm_kernel_regularILi512EffEviPT0_lllS1_lllT1_S2_S2_S2_S2_
                                        ; -- End function
	.section	.AMDGPU.csdata,"",@progbits
; Kernel info:
; codeLenInByte = 400
; NumSgprs: 22
; NumVgprs: 8
; NumAgprs: 0
; TotalNumVgprs: 8
; ScratchSize: 0
; MemoryBound: 0
; FloatMode: 240
; IeeeMode: 1
; LDSByteSize: 0 bytes/workgroup (compile time only)
; SGPRBlocks: 2
; VGPRBlocks: 0
; NumSGPRsForWavesPerEU: 22
; NumVGPRsForWavesPerEU: 8
; AccumOffset: 8
; Occupancy: 8
; WaveLimiterHint : 1
; COMPUTE_PGM_RSRC2:SCRATCH_EN: 0
; COMPUTE_PGM_RSRC2:USER_SGPR: 6
; COMPUTE_PGM_RSRC2:TRAP_HANDLER: 0
; COMPUTE_PGM_RSRC2:TGID_X_EN: 1
; COMPUTE_PGM_RSRC2:TGID_Y_EN: 0
; COMPUTE_PGM_RSRC2:TGID_Z_EN: 0
; COMPUTE_PGM_RSRC2:TIDIG_COMP_CNT: 0
; COMPUTE_PGM_RSRC3_GFX90A:ACCUM_OFFSET: 1
; COMPUTE_PGM_RSRC3_GFX90A:TG_SPLIT: 0
	.section	.text._ZL27rocblas_rotm_kernel_batchedILi512EPdPKdEviT0_lllS3_lllT1_lli,"axG",@progbits,_ZL27rocblas_rotm_kernel_batchedILi512EPdPKdEviT0_lllS3_lllT1_lli,comdat
	.globl	_ZL27rocblas_rotm_kernel_batchedILi512EPdPKdEviT0_lllS3_lllT1_lli ; -- Begin function _ZL27rocblas_rotm_kernel_batchedILi512EPdPKdEviT0_lllS3_lllT1_lli
	.p2align	8
	.type	_ZL27rocblas_rotm_kernel_batchedILi512EPdPKdEviT0_lllS3_lllT1_lli,@function
_ZL27rocblas_rotm_kernel_batchedILi512EPdPKdEviT0_lllS3_lllT1_lli: ; @_ZL27rocblas_rotm_kernel_batchedILi512EPdPKdEviT0_lllS3_lllT1_lli
; %bb.0:
	s_load_dword s8, s[4:5], 0x0
	s_load_dwordx2 s[10:11], s[4:5], 0x58
	s_load_dwordx4 s[0:3], s[4:5], 0x48
	s_load_dword s12, s[4:5], 0x74
	v_mov_b32_e32 v1, 0
	s_waitcnt lgkmcnt(0)
	s_ashr_i32 s9, s8, 31
	s_mul_i32 s11, s7, s11
	s_mul_hi_u32 s13, s7, s10
	s_add_i32 s11, s13, s11
	s_mul_i32 s10, s7, s10
	s_lshl_b64 s[10:11], s[10:11], 3
	s_add_u32 s10, s0, s10
	s_addc_u32 s11, s1, s11
	s_lshl_b64 s[0:1], s[2:3], 3
	s_add_u32 s0, s10, s0
	s_addc_u32 s1, s11, s1
	s_load_dwordx8 s[24:31], s[0:1], 0x0
	s_and_b32 s2, s12, 0xffff
	s_mul_i32 s6, s6, s2
	v_add_u32_e32 v0, s6, v0
	v_cmp_gt_i64_e32 vcc, s[8:9], v[0:1]
	s_waitcnt lgkmcnt(0)
	v_cmp_neq_f64_e64 s[2:3], s[24:25], -2.0
	s_and_b64 s[2:3], s[2:3], vcc
	s_and_saveexec_b64 s[8:9], s[2:3]
	s_cbranch_execz .LBB2_9
; %bb.1:
	s_load_dwordx16 s[8:23], s[4:5], 0x8
	s_waitcnt lgkmcnt(0)
	s_mul_i32 s3, s7, s23
	s_mul_hi_u32 s4, s7, s22
	s_mul_i32 s2, s7, s22
	s_add_i32 s3, s4, s3
	s_lshl_b64 s[2:3], s[2:3], 3
	s_add_u32 s4, s16, s2
	s_addc_u32 s6, s17, s3
	s_lshl_b64 s[2:3], s[18:19], 3
	s_mul_i32 s5, s7, s15
	s_add_u32 s4, s4, s2
	s_mul_hi_u32 s2, s7, s14
	s_addc_u32 s6, s6, s3
	s_add_i32 s3, s2, s5
	s_mul_i32 s2, s7, s14
	s_lshl_b64 s[2:3], s[2:3], 3
	s_add_u32 s5, s8, s2
	s_addc_u32 s7, s9, s3
	s_lshl_b64 s[2:3], s[10:11], 3
	s_add_u32 s5, s5, s2
	s_addc_u32 s7, s7, s3
	v_mad_u64_u32 v[2:3], s[2:3], v0, s12, 0
	v_mov_b32_e32 v4, v3
	v_mad_u64_u32 v[4:5], s[2:3], v0, s13, v[4:5]
	v_mad_u64_u32 v[6:7], s[2:3], v0, s20, 0
	v_mov_b32_e32 v3, v4
	v_mov_b32_e32 v4, v7
	v_mad_u64_u32 v[0:1], s[2:3], v0, s21, v[4:5]
	v_mov_b32_e32 v7, v0
	v_lshlrev_b64 v[0:1], 3, v[2:3]
	v_mov_b32_e32 v2, s7
	v_add_co_u32_e32 v0, vcc, s5, v0
	v_addc_co_u32_e32 v1, vcc, v2, v1, vcc
	v_lshlrev_b64 v[2:3], 3, v[6:7]
	v_mov_b32_e32 v6, s6
	v_add_co_u32_e32 v2, vcc, s4, v2
	v_addc_co_u32_e32 v3, vcc, v6, v3, vcc
	global_load_dwordx2 v[4:5], v[0:1], off
	global_load_dwordx2 v[6:7], v[2:3], off
	s_load_dwordx2 s[0:1], s[0:1], 0x20
	v_cmp_nlt_f64_e64 s[2:3], s[24:25], 0
	s_and_b64 vcc, exec, s[2:3]
	s_cbranch_vccz .LBB2_6
; %bb.2:
	v_cmp_neq_f64_e64 s[4:5], s[24:25], 0
	s_mov_b64 s[2:3], 0
	s_and_b64 vcc, exec, s[4:5]
	s_cbranch_vccz .LBB2_10
; %bb.3:
	s_waitcnt vmcnt(0)
	v_fma_f64 v[8:9], s[26:27], v[4:5], v[6:7]
	global_store_dwordx2 v[0:1], v[8:9], off
	s_waitcnt lgkmcnt(0)
	v_fma_f64 v[8:9], s[0:1], v[6:7], -v[4:5]
	s_andn2_b64 vcc, exec, s[2:3]
	s_cbranch_vccnz .LBB2_5
.LBB2_4:
	s_waitcnt vmcnt(0)
	v_fma_f64 v[8:9], s[30:31], v[6:7], v[4:5]
	global_store_dwordx2 v[0:1], v[8:9], off
	v_fma_f64 v[8:9], s[28:29], v[4:5], v[6:7]
.LBB2_5:
	s_cbranch_execz .LBB2_7
	s_branch .LBB2_8
.LBB2_6:
                                        ; implicit-def: $vgpr8_vgpr9
.LBB2_7:
	s_waitcnt vmcnt(0)
	v_mul_f64 v[8:9], s[30:31], v[6:7]
	v_fmac_f64_e32 v[8:9], s[26:27], v[4:5]
	global_store_dwordx2 v[0:1], v[8:9], off
	s_waitcnt lgkmcnt(0)
	v_mul_f64 v[8:9], s[0:1], v[6:7]
	v_fmac_f64_e32 v[8:9], s[28:29], v[4:5]
.LBB2_8:
	global_store_dwordx2 v[2:3], v[8:9], off
.LBB2_9:
	s_endpgm
.LBB2_10:
                                        ; implicit-def: $vgpr8_vgpr9
	s_branch .LBB2_4
	.section	.rodata,"a",@progbits
	.p2align	6, 0x0
	.amdhsa_kernel _ZL27rocblas_rotm_kernel_batchedILi512EPdPKdEviT0_lllS3_lllT1_lli
		.amdhsa_group_segment_fixed_size 0
		.amdhsa_private_segment_fixed_size 0
		.amdhsa_kernarg_size 360
		.amdhsa_user_sgpr_count 6
		.amdhsa_user_sgpr_private_segment_buffer 1
		.amdhsa_user_sgpr_dispatch_ptr 0
		.amdhsa_user_sgpr_queue_ptr 0
		.amdhsa_user_sgpr_kernarg_segment_ptr 1
		.amdhsa_user_sgpr_dispatch_id 0
		.amdhsa_user_sgpr_flat_scratch_init 0
		.amdhsa_user_sgpr_kernarg_preload_length 0
		.amdhsa_user_sgpr_kernarg_preload_offset 0
		.amdhsa_user_sgpr_private_segment_size 0
		.amdhsa_uses_dynamic_stack 0
		.amdhsa_system_sgpr_private_segment_wavefront_offset 0
		.amdhsa_system_sgpr_workgroup_id_x 1
		.amdhsa_system_sgpr_workgroup_id_y 0
		.amdhsa_system_sgpr_workgroup_id_z 1
		.amdhsa_system_sgpr_workgroup_info 0
		.amdhsa_system_vgpr_workitem_id 0
		.amdhsa_next_free_vgpr 10
		.amdhsa_next_free_sgpr 32
		.amdhsa_accum_offset 12
		.amdhsa_reserve_vcc 1
		.amdhsa_reserve_flat_scratch 0
		.amdhsa_float_round_mode_32 0
		.amdhsa_float_round_mode_16_64 0
		.amdhsa_float_denorm_mode_32 3
		.amdhsa_float_denorm_mode_16_64 3
		.amdhsa_dx10_clamp 1
		.amdhsa_ieee_mode 1
		.amdhsa_fp16_overflow 0
		.amdhsa_tg_split 0
		.amdhsa_exception_fp_ieee_invalid_op 0
		.amdhsa_exception_fp_denorm_src 0
		.amdhsa_exception_fp_ieee_div_zero 0
		.amdhsa_exception_fp_ieee_overflow 0
		.amdhsa_exception_fp_ieee_underflow 0
		.amdhsa_exception_fp_ieee_inexact 0
		.amdhsa_exception_int_div_zero 0
	.end_amdhsa_kernel
	.section	.text._ZL27rocblas_rotm_kernel_batchedILi512EPdPKdEviT0_lllS3_lllT1_lli,"axG",@progbits,_ZL27rocblas_rotm_kernel_batchedILi512EPdPKdEviT0_lllS3_lllT1_lli,comdat
.Lfunc_end2:
	.size	_ZL27rocblas_rotm_kernel_batchedILi512EPdPKdEviT0_lllS3_lllT1_lli, .Lfunc_end2-_ZL27rocblas_rotm_kernel_batchedILi512EPdPKdEviT0_lllS3_lllT1_lli
                                        ; -- End function
	.section	.AMDGPU.csdata,"",@progbits
; Kernel info:
; codeLenInByte = 508
; NumSgprs: 36
; NumVgprs: 10
; NumAgprs: 0
; TotalNumVgprs: 10
; ScratchSize: 0
; MemoryBound: 0
; FloatMode: 240
; IeeeMode: 1
; LDSByteSize: 0 bytes/workgroup (compile time only)
; SGPRBlocks: 4
; VGPRBlocks: 1
; NumSGPRsForWavesPerEU: 36
; NumVGPRsForWavesPerEU: 10
; AccumOffset: 12
; Occupancy: 8
; WaveLimiterHint : 1
; COMPUTE_PGM_RSRC2:SCRATCH_EN: 0
; COMPUTE_PGM_RSRC2:USER_SGPR: 6
; COMPUTE_PGM_RSRC2:TRAP_HANDLER: 0
; COMPUTE_PGM_RSRC2:TGID_X_EN: 1
; COMPUTE_PGM_RSRC2:TGID_Y_EN: 0
; COMPUTE_PGM_RSRC2:TGID_Z_EN: 1
; COMPUTE_PGM_RSRC2:TIDIG_COMP_CNT: 0
; COMPUTE_PGM_RSRC3_GFX90A:ACCUM_OFFSET: 2
; COMPUTE_PGM_RSRC3_GFX90A:TG_SPLIT: 0
	.section	.text._ZL27rocblas_rotm_kernel_regularILi512EddEviPT0_lllS1_lllT1_S2_S2_S2_S2_,"axG",@progbits,_ZL27rocblas_rotm_kernel_regularILi512EddEviPT0_lllS1_lllT1_S2_S2_S2_S2_,comdat
	.globl	_ZL27rocblas_rotm_kernel_regularILi512EddEviPT0_lllS1_lllT1_S2_S2_S2_S2_ ; -- Begin function _ZL27rocblas_rotm_kernel_regularILi512EddEviPT0_lllS1_lllT1_S2_S2_S2_S2_
	.p2align	8
	.type	_ZL27rocblas_rotm_kernel_regularILi512EddEviPT0_lllS1_lllT1_S2_S2_S2_S2_,@function
_ZL27rocblas_rotm_kernel_regularILi512EddEviPT0_lllS1_lllT1_S2_S2_S2_S2_: ; @_ZL27rocblas_rotm_kernel_regularILi512EddEviPT0_lllS1_lllT1_S2_S2_S2_S2_
; %bb.0:
	s_load_dword s0, s[4:5], 0x0
	s_load_dword s2, s[4:5], 0x7c
	s_load_dwordx8 s[8:15], s[4:5], 0x48
	v_mov_b32_e32 v1, 0
	s_waitcnt lgkmcnt(0)
	s_ashr_i32 s1, s0, 31
	s_and_b32 s2, s2, 0xffff
	s_mul_i32 s6, s6, s2
	v_add_u32_e32 v0, s6, v0
	v_cmp_gt_i64_e32 vcc, s[0:1], v[0:1]
	v_cmp_neq_f64_e64 s[0:1], s[8:9], -2.0
	s_and_b64 s[0:1], s[0:1], vcc
	s_and_saveexec_b64 s[2:3], s[0:1]
	s_cbranch_execz .LBB3_9
; %bb.1:
	s_load_dwordx4 s[0:3], s[4:5], 0x28
	s_load_dwordx4 s[16:19], s[4:5], 0x8
	s_load_dwordx2 s[6:7], s[4:5], 0x18
	s_load_dwordx2 s[20:21], s[4:5], 0x38
	s_waitcnt lgkmcnt(0)
	s_lshl_b64 s[2:3], s[2:3], 3
	s_add_u32 s2, s0, s2
	s_addc_u32 s3, s1, s3
	s_lshl_b64 s[0:1], s[18:19], 3
	s_add_u32 s16, s16, s0
	s_addc_u32 s17, s17, s1
	v_mad_u64_u32 v[2:3], s[0:1], v0, s6, 0
	v_mov_b32_e32 v4, v3
	v_mad_u64_u32 v[4:5], s[0:1], v0, s7, v[4:5]
	v_mad_u64_u32 v[6:7], s[0:1], v0, s20, 0
	v_mov_b32_e32 v3, v4
	v_mov_b32_e32 v4, v7
	v_mad_u64_u32 v[0:1], s[0:1], v0, s21, v[4:5]
	v_mov_b32_e32 v7, v0
	v_lshlrev_b64 v[0:1], 3, v[2:3]
	v_mov_b32_e32 v2, s17
	v_add_co_u32_e32 v0, vcc, s16, v0
	v_addc_co_u32_e32 v1, vcc, v2, v1, vcc
	v_lshlrev_b64 v[2:3], 3, v[6:7]
	v_mov_b32_e32 v6, s3
	v_add_co_u32_e32 v2, vcc, s2, v2
	v_addc_co_u32_e32 v3, vcc, v6, v3, vcc
	global_load_dwordx2 v[4:5], v[0:1], off
	global_load_dwordx2 v[6:7], v[2:3], off
	s_load_dwordx2 s[0:1], s[4:5], 0x68
	v_cmp_nlt_f64_e64 s[2:3], s[8:9], 0
	s_and_b64 vcc, exec, s[2:3]
	s_cbranch_vccz .LBB3_6
; %bb.2:
	v_cmp_neq_f64_e64 s[4:5], s[8:9], 0
	s_mov_b64 s[2:3], 0
	s_and_b64 vcc, exec, s[4:5]
	s_cbranch_vccz .LBB3_10
; %bb.3:
	s_waitcnt vmcnt(0)
	v_fma_f64 v[8:9], s[10:11], v[4:5], v[6:7]
	global_store_dwordx2 v[0:1], v[8:9], off
	s_waitcnt lgkmcnt(0)
	v_fma_f64 v[8:9], v[6:7], s[0:1], -v[4:5]
	s_andn2_b64 vcc, exec, s[2:3]
	s_cbranch_vccnz .LBB3_5
.LBB3_4:
	s_waitcnt vmcnt(0)
	v_fma_f64 v[8:9], s[14:15], v[6:7], v[4:5]
	global_store_dwordx2 v[0:1], v[8:9], off
	v_fma_f64 v[8:9], s[12:13], v[4:5], v[6:7]
.LBB3_5:
	s_cbranch_execz .LBB3_7
	s_branch .LBB3_8
.LBB3_6:
                                        ; implicit-def: $vgpr8_vgpr9
.LBB3_7:
	s_waitcnt vmcnt(0)
	v_mul_f64 v[8:9], v[6:7], s[14:15]
	v_fmac_f64_e32 v[8:9], s[10:11], v[4:5]
	global_store_dwordx2 v[0:1], v[8:9], off
	s_waitcnt lgkmcnt(0)
	v_mul_f64 v[8:9], v[6:7], s[0:1]
	v_fmac_f64_e32 v[8:9], s[12:13], v[4:5]
.LBB3_8:
	global_store_dwordx2 v[2:3], v[8:9], off
.LBB3_9:
	s_endpgm
.LBB3_10:
                                        ; implicit-def: $vgpr8_vgpr9
	s_branch .LBB3_4
	.section	.rodata,"a",@progbits
	.p2align	6, 0x0
	.amdhsa_kernel _ZL27rocblas_rotm_kernel_regularILi512EddEviPT0_lllS1_lllT1_S2_S2_S2_S2_
		.amdhsa_group_segment_fixed_size 0
		.amdhsa_private_segment_fixed_size 0
		.amdhsa_kernarg_size 368
		.amdhsa_user_sgpr_count 6
		.amdhsa_user_sgpr_private_segment_buffer 1
		.amdhsa_user_sgpr_dispatch_ptr 0
		.amdhsa_user_sgpr_queue_ptr 0
		.amdhsa_user_sgpr_kernarg_segment_ptr 1
		.amdhsa_user_sgpr_dispatch_id 0
		.amdhsa_user_sgpr_flat_scratch_init 0
		.amdhsa_user_sgpr_kernarg_preload_length 0
		.amdhsa_user_sgpr_kernarg_preload_offset 0
		.amdhsa_user_sgpr_private_segment_size 0
		.amdhsa_uses_dynamic_stack 0
		.amdhsa_system_sgpr_private_segment_wavefront_offset 0
		.amdhsa_system_sgpr_workgroup_id_x 1
		.amdhsa_system_sgpr_workgroup_id_y 0
		.amdhsa_system_sgpr_workgroup_id_z 0
		.amdhsa_system_sgpr_workgroup_info 0
		.amdhsa_system_vgpr_workitem_id 0
		.amdhsa_next_free_vgpr 10
		.amdhsa_next_free_sgpr 22
		.amdhsa_accum_offset 12
		.amdhsa_reserve_vcc 1
		.amdhsa_reserve_flat_scratch 0
		.amdhsa_float_round_mode_32 0
		.amdhsa_float_round_mode_16_64 0
		.amdhsa_float_denorm_mode_32 3
		.amdhsa_float_denorm_mode_16_64 3
		.amdhsa_dx10_clamp 1
		.amdhsa_ieee_mode 1
		.amdhsa_fp16_overflow 0
		.amdhsa_tg_split 0
		.amdhsa_exception_fp_ieee_invalid_op 0
		.amdhsa_exception_fp_denorm_src 0
		.amdhsa_exception_fp_ieee_div_zero 0
		.amdhsa_exception_fp_ieee_overflow 0
		.amdhsa_exception_fp_ieee_underflow 0
		.amdhsa_exception_fp_ieee_inexact 0
		.amdhsa_exception_int_div_zero 0
	.end_amdhsa_kernel
	.section	.text._ZL27rocblas_rotm_kernel_regularILi512EddEviPT0_lllS1_lllT1_S2_S2_S2_S2_,"axG",@progbits,_ZL27rocblas_rotm_kernel_regularILi512EddEviPT0_lllS1_lllT1_S2_S2_S2_S2_,comdat
.Lfunc_end3:
	.size	_ZL27rocblas_rotm_kernel_regularILi512EddEviPT0_lllS1_lllT1_S2_S2_S2_S2_, .Lfunc_end3-_ZL27rocblas_rotm_kernel_regularILi512EddEviPT0_lllS1_lllT1_S2_S2_S2_S2_
                                        ; -- End function
	.section	.AMDGPU.csdata,"",@progbits
; Kernel info:
; codeLenInByte = 416
; NumSgprs: 26
; NumVgprs: 10
; NumAgprs: 0
; TotalNumVgprs: 10
; ScratchSize: 0
; MemoryBound: 0
; FloatMode: 240
; IeeeMode: 1
; LDSByteSize: 0 bytes/workgroup (compile time only)
; SGPRBlocks: 3
; VGPRBlocks: 1
; NumSGPRsForWavesPerEU: 26
; NumVGPRsForWavesPerEU: 10
; AccumOffset: 12
; Occupancy: 8
; WaveLimiterHint : 1
; COMPUTE_PGM_RSRC2:SCRATCH_EN: 0
; COMPUTE_PGM_RSRC2:USER_SGPR: 6
; COMPUTE_PGM_RSRC2:TRAP_HANDLER: 0
; COMPUTE_PGM_RSRC2:TGID_X_EN: 1
; COMPUTE_PGM_RSRC2:TGID_Y_EN: 0
; COMPUTE_PGM_RSRC2:TGID_Z_EN: 0
; COMPUTE_PGM_RSRC2:TIDIG_COMP_CNT: 0
; COMPUTE_PGM_RSRC3_GFX90A:ACCUM_OFFSET: 2
; COMPUTE_PGM_RSRC3_GFX90A:TG_SPLIT: 0
	.section	.text._ZL27rocblas_rotm_kernel_batchedILi512EPKPfPKPKfEviT0_lllS7_lllT1_lli,"axG",@progbits,_ZL27rocblas_rotm_kernel_batchedILi512EPKPfPKPKfEviT0_lllS7_lllT1_lli,comdat
	.globl	_ZL27rocblas_rotm_kernel_batchedILi512EPKPfPKPKfEviT0_lllS7_lllT1_lli ; -- Begin function _ZL27rocblas_rotm_kernel_batchedILi512EPKPfPKPKfEviT0_lllS7_lllT1_lli
	.p2align	8
	.type	_ZL27rocblas_rotm_kernel_batchedILi512EPKPfPKPKfEviT0_lllS7_lllT1_lli,@function
_ZL27rocblas_rotm_kernel_batchedILi512EPKPfPKPKfEviT0_lllS7_lllT1_lli: ; @_ZL27rocblas_rotm_kernel_batchedILi512EPKPfPKPKfEviT0_lllS7_lllT1_lli
; %bb.0:
	s_mov_b32 s8, s7
	s_load_dword s12, s[4:5], 0x0
	s_load_dwordx4 s[0:3], s[4:5], 0x48
	s_load_dword s7, s[4:5], 0x74
	s_mov_b32 s9, 0
	s_lshl_b64 s[10:11], s[8:9], 3
	s_waitcnt lgkmcnt(0)
	s_ashr_i32 s13, s12, 31
	s_add_u32 s0, s0, s10
	s_addc_u32 s1, s1, s11
	s_load_dwordx2 s[0:1], s[0:1], 0x0
	s_lshl_b64 s[2:3], s[2:3], 2
	v_mov_b32_e32 v1, 0
	s_waitcnt lgkmcnt(0)
	s_add_u32 s8, s0, s2
	s_addc_u32 s9, s1, s3
	s_load_dwordx4 s[0:3], s[8:9], 0x0
	s_and_b32 s7, s7, 0xffff
	s_mul_i32 s6, s6, s7
	v_add_u32_e32 v0, s6, v0
	v_cmp_gt_i64_e32 vcc, s[12:13], v[0:1]
	s_waitcnt lgkmcnt(0)
	v_cmp_neq_f32_e64 s[6:7], s0, -2.0
	s_and_b64 s[6:7], s[6:7], vcc
	s_and_saveexec_b64 s[12:13], s[6:7]
	s_cbranch_execz .LBB4_9
; %bb.1:
	s_load_dwordx4 s[12:15], s[4:5], 0x28
	s_load_dwordx4 s[16:19], s[4:5], 0x8
	s_load_dwordx2 s[6:7], s[4:5], 0x18
	s_load_dwordx2 s[20:21], s[4:5], 0x38
	s_waitcnt lgkmcnt(0)
	s_add_u32 s4, s12, s10
	s_addc_u32 s5, s13, s11
	s_load_dwordx2 s[4:5], s[4:5], 0x0
	v_mad_u64_u32 v[2:3], s[12:13], v0, s6, 0
	s_lshl_b64 s[12:13], s[14:15], 2
	v_mov_b32_e32 v4, v3
	s_waitcnt lgkmcnt(0)
	s_add_u32 s12, s4, s12
	s_addc_u32 s13, s5, s13
	s_add_u32 s4, s16, s10
	s_addc_u32 s5, s17, s11
	s_load_dwordx2 s[4:5], s[4:5], 0x0
	v_mad_u64_u32 v[4:5], s[6:7], v0, s7, v[4:5]
	s_lshl_b64 s[6:7], s[18:19], 2
	v_mov_b32_e32 v3, v4
	s_waitcnt lgkmcnt(0)
	s_add_u32 s6, s4, s6
	s_addc_u32 s7, s5, s7
	v_mad_u64_u32 v[6:7], s[4:5], v0, s20, 0
	v_mov_b32_e32 v4, v7
	v_mad_u64_u32 v[0:1], s[4:5], v0, s21, v[4:5]
	v_mov_b32_e32 v7, v0
	v_lshlrev_b64 v[0:1], 2, v[2:3]
	v_mov_b32_e32 v2, s7
	v_add_co_u32_e32 v0, vcc, s6, v0
	v_addc_co_u32_e32 v1, vcc, v2, v1, vcc
	v_lshlrev_b64 v[2:3], 2, v[6:7]
	v_mov_b32_e32 v5, s13
	v_add_co_u32_e32 v2, vcc, s12, v2
	v_addc_co_u32_e32 v3, vcc, v5, v3, vcc
	global_load_dword v4, v[0:1], off
	global_load_dword v5, v[2:3], off
	s_load_dword s6, s[8:9], 0x10
	v_cmp_nlt_f32_e64 s[4:5], s0, 0
	s_and_b64 vcc, exec, s[4:5]
	s_cbranch_vccz .LBB4_6
; %bb.2:
	v_cmp_neq_f32_e64 s[4:5], s0, 0
	s_and_b64 vcc, exec, s[4:5]
	s_cbranch_vccz .LBB4_10
; %bb.3:
	s_waitcnt vmcnt(0)
	v_fma_f32 v6, s1, v4, v5
	global_store_dword v[0:1], v6, off
	s_waitcnt lgkmcnt(0)
	v_fma_f32 v6, s6, v5, -v4
	s_cbranch_execnz .LBB4_5
.LBB4_4:
	s_waitcnt vmcnt(0)
	v_fma_f32 v6, s3, v5, v4
	global_store_dword v[0:1], v6, off
	v_fma_f32 v6, s2, v4, v5
.LBB4_5:
	s_cbranch_execz .LBB4_7
	s_branch .LBB4_8
.LBB4_6:
                                        ; implicit-def: $vgpr6
.LBB4_7:
	s_waitcnt vmcnt(0)
	v_mul_f32_e32 v6, s3, v5
	v_fmac_f32_e32 v6, s1, v4
	global_store_dword v[0:1], v6, off
	s_waitcnt lgkmcnt(0)
	v_mul_f32_e32 v6, s6, v5
	v_fmac_f32_e32 v6, s2, v4
.LBB4_8:
	global_store_dword v[2:3], v6, off
.LBB4_9:
	s_endpgm
.LBB4_10:
                                        ; implicit-def: $vgpr6
	s_branch .LBB4_4
	.section	.rodata,"a",@progbits
	.p2align	6, 0x0
	.amdhsa_kernel _ZL27rocblas_rotm_kernel_batchedILi512EPKPfPKPKfEviT0_lllS7_lllT1_lli
		.amdhsa_group_segment_fixed_size 0
		.amdhsa_private_segment_fixed_size 0
		.amdhsa_kernarg_size 360
		.amdhsa_user_sgpr_count 6
		.amdhsa_user_sgpr_private_segment_buffer 1
		.amdhsa_user_sgpr_dispatch_ptr 0
		.amdhsa_user_sgpr_queue_ptr 0
		.amdhsa_user_sgpr_kernarg_segment_ptr 1
		.amdhsa_user_sgpr_dispatch_id 0
		.amdhsa_user_sgpr_flat_scratch_init 0
		.amdhsa_user_sgpr_kernarg_preload_length 0
		.amdhsa_user_sgpr_kernarg_preload_offset 0
		.amdhsa_user_sgpr_private_segment_size 0
		.amdhsa_uses_dynamic_stack 0
		.amdhsa_system_sgpr_private_segment_wavefront_offset 0
		.amdhsa_system_sgpr_workgroup_id_x 1
		.amdhsa_system_sgpr_workgroup_id_y 0
		.amdhsa_system_sgpr_workgroup_id_z 1
		.amdhsa_system_sgpr_workgroup_info 0
		.amdhsa_system_vgpr_workitem_id 0
		.amdhsa_next_free_vgpr 8
		.amdhsa_next_free_sgpr 22
		.amdhsa_accum_offset 8
		.amdhsa_reserve_vcc 1
		.amdhsa_reserve_flat_scratch 0
		.amdhsa_float_round_mode_32 0
		.amdhsa_float_round_mode_16_64 0
		.amdhsa_float_denorm_mode_32 3
		.amdhsa_float_denorm_mode_16_64 3
		.amdhsa_dx10_clamp 1
		.amdhsa_ieee_mode 1
		.amdhsa_fp16_overflow 0
		.amdhsa_tg_split 0
		.amdhsa_exception_fp_ieee_invalid_op 0
		.amdhsa_exception_fp_denorm_src 0
		.amdhsa_exception_fp_ieee_div_zero 0
		.amdhsa_exception_fp_ieee_overflow 0
		.amdhsa_exception_fp_ieee_underflow 0
		.amdhsa_exception_fp_ieee_inexact 0
		.amdhsa_exception_int_div_zero 0
	.end_amdhsa_kernel
	.section	.text._ZL27rocblas_rotm_kernel_batchedILi512EPKPfPKPKfEviT0_lllS7_lllT1_lli,"axG",@progbits,_ZL27rocblas_rotm_kernel_batchedILi512EPKPfPKPKfEviT0_lllS7_lllT1_lli,comdat
.Lfunc_end4:
	.size	_ZL27rocblas_rotm_kernel_batchedILi512EPKPfPKPKfEviT0_lllS7_lllT1_lli, .Lfunc_end4-_ZL27rocblas_rotm_kernel_batchedILi512EPKPfPKPKfEviT0_lllS7_lllT1_lli
                                        ; -- End function
	.section	.AMDGPU.csdata,"",@progbits
; Kernel info:
; codeLenInByte = 496
; NumSgprs: 26
; NumVgprs: 8
; NumAgprs: 0
; TotalNumVgprs: 8
; ScratchSize: 0
; MemoryBound: 0
; FloatMode: 240
; IeeeMode: 1
; LDSByteSize: 0 bytes/workgroup (compile time only)
; SGPRBlocks: 3
; VGPRBlocks: 0
; NumSGPRsForWavesPerEU: 26
; NumVGPRsForWavesPerEU: 8
; AccumOffset: 8
; Occupancy: 8
; WaveLimiterHint : 1
; COMPUTE_PGM_RSRC2:SCRATCH_EN: 0
; COMPUTE_PGM_RSRC2:USER_SGPR: 6
; COMPUTE_PGM_RSRC2:TRAP_HANDLER: 0
; COMPUTE_PGM_RSRC2:TGID_X_EN: 1
; COMPUTE_PGM_RSRC2:TGID_Y_EN: 0
; COMPUTE_PGM_RSRC2:TGID_Z_EN: 1
; COMPUTE_PGM_RSRC2:TIDIG_COMP_CNT: 0
; COMPUTE_PGM_RSRC3_GFX90A:ACCUM_OFFSET: 1
; COMPUTE_PGM_RSRC3_GFX90A:TG_SPLIT: 0
	.section	.text._ZL27rocblas_rotm_kernel_regularILi512EKPfPKfEviPT0_lllS5_lllT1_S6_S6_S6_S6_,"axG",@progbits,_ZL27rocblas_rotm_kernel_regularILi512EKPfPKfEviPT0_lllS5_lllT1_S6_S6_S6_S6_,comdat
	.globl	_ZL27rocblas_rotm_kernel_regularILi512EKPfPKfEviPT0_lllS5_lllT1_S6_S6_S6_S6_ ; -- Begin function _ZL27rocblas_rotm_kernel_regularILi512EKPfPKfEviPT0_lllS5_lllT1_S6_S6_S6_S6_
	.p2align	8
	.type	_ZL27rocblas_rotm_kernel_regularILi512EKPfPKfEviPT0_lllS5_lllT1_S6_S6_S6_S6_,@function
_ZL27rocblas_rotm_kernel_regularILi512EKPfPKfEviPT0_lllS5_lllT1_S6_S6_S6_S6_: ; @_ZL27rocblas_rotm_kernel_regularILi512EKPfPKfEviPT0_lllS5_lllT1_S6_S6_S6_S6_
; %bb.0:
	s_load_dword s0, s[4:5], 0x0
	s_load_dwordx8 s[8:15], s[4:5], 0x48
	s_load_dword s2, s[4:5], 0x7c
	v_mov_b32_e32 v1, 0
	s_waitcnt lgkmcnt(0)
	s_ashr_i32 s1, s0, 31
	s_load_dword s7, s[8:9], 0x0
	s_and_b32 s2, s2, 0xffff
	s_mul_i32 s6, s6, s2
	v_add_u32_e32 v0, s6, v0
	v_cmp_gt_i64_e32 vcc, s[0:1], v[0:1]
	s_waitcnt lgkmcnt(0)
	v_cmp_neq_f32_e64 s[0:1], s7, -2.0
	s_and_b64 s[0:1], s[0:1], vcc
	s_and_saveexec_b64 s[2:3], s[0:1]
	s_cbranch_execz .LBB5_9
; %bb.1:
	s_load_dwordx4 s[16:19], s[4:5], 0x28
	s_load_dwordx4 s[0:3], s[4:5], 0x8
	s_load_dwordx2 s[8:9], s[4:5], 0x18
	s_load_dwordx2 s[20:21], s[4:5], 0x38
	s_waitcnt lgkmcnt(0)
	s_lshl_b64 s[18:19], s[18:19], 2
	s_load_dwordx2 s[16:17], s[16:17], 0x0
	v_mad_u64_u32 v[2:3], s[22:23], v0, s8, 0
	s_load_dwordx2 s[0:1], s[0:1], 0x0
	v_mov_b32_e32 v4, v3
	s_waitcnt lgkmcnt(0)
	s_add_u32 s6, s16, s18
	s_addc_u32 s8, s17, s19
	s_lshl_b64 s[2:3], s[2:3], 2
	s_add_u32 s2, s0, s2
	s_addc_u32 s3, s1, s3
	v_mad_u64_u32 v[4:5], s[0:1], v0, s9, v[4:5]
	v_mad_u64_u32 v[6:7], s[0:1], v0, s20, 0
	v_mov_b32_e32 v3, v4
	v_mov_b32_e32 v4, v7
	v_mad_u64_u32 v[0:1], s[0:1], v0, s21, v[4:5]
	v_mov_b32_e32 v7, v0
	v_lshlrev_b64 v[0:1], 2, v[2:3]
	v_mov_b32_e32 v2, s3
	v_add_co_u32_e32 v0, vcc, s2, v0
	v_addc_co_u32_e32 v1, vcc, v2, v1, vcc
	v_lshlrev_b64 v[2:3], 2, v[6:7]
	v_mov_b32_e32 v5, s8
	v_add_co_u32_e32 v2, vcc, s6, v2
	v_addc_co_u32_e32 v3, vcc, v5, v3, vcc
	global_load_dword v4, v[0:1], off
	global_load_dword v5, v[2:3], off
	s_load_dwordx2 s[0:1], s[4:5], 0x68
	s_load_dword s3, s[10:11], 0x0
	s_load_dword s2, s[12:13], 0x0
	;; [unrolled: 1-line block ×3, first 2 shown]
	s_waitcnt lgkmcnt(0)
	s_load_dword s4, s[0:1], 0x0
	v_cmp_nlt_f32_e64 s[0:1], s7, 0
	s_and_b64 vcc, exec, s[0:1]
	s_cbranch_vccz .LBB5_6
; %bb.2:
	v_cmp_neq_f32_e64 s[0:1], s7, 0
	s_and_b64 vcc, exec, s[0:1]
	s_cbranch_vccz .LBB5_10
; %bb.3:
	s_waitcnt vmcnt(0)
	v_fma_f32 v6, s3, v4, v5
	global_store_dword v[0:1], v6, off
	s_waitcnt lgkmcnt(0)
	v_fma_f32 v6, s4, v5, -v4
	s_cbranch_execnz .LBB5_5
.LBB5_4:
	s_waitcnt vmcnt(0)
	v_fma_f32 v6, s6, v5, v4
	global_store_dword v[0:1], v6, off
	v_fma_f32 v6, s2, v4, v5
.LBB5_5:
	s_cbranch_execz .LBB5_7
	s_branch .LBB5_8
.LBB5_6:
                                        ; implicit-def: $vgpr6
.LBB5_7:
	s_waitcnt vmcnt(0)
	v_mul_f32_e32 v6, s6, v5
	v_fmac_f32_e32 v6, s3, v4
	global_store_dword v[0:1], v6, off
	s_waitcnt lgkmcnt(0)
	v_mul_f32_e32 v6, s4, v5
	v_fmac_f32_e32 v6, s2, v4
.LBB5_8:
	global_store_dword v[2:3], v6, off
.LBB5_9:
	s_endpgm
.LBB5_10:
                                        ; implicit-def: $vgpr6
	s_branch .LBB5_4
	.section	.rodata,"a",@progbits
	.p2align	6, 0x0
	.amdhsa_kernel _ZL27rocblas_rotm_kernel_regularILi512EKPfPKfEviPT0_lllS5_lllT1_S6_S6_S6_S6_
		.amdhsa_group_segment_fixed_size 0
		.amdhsa_private_segment_fixed_size 0
		.amdhsa_kernarg_size 368
		.amdhsa_user_sgpr_count 6
		.amdhsa_user_sgpr_private_segment_buffer 1
		.amdhsa_user_sgpr_dispatch_ptr 0
		.amdhsa_user_sgpr_queue_ptr 0
		.amdhsa_user_sgpr_kernarg_segment_ptr 1
		.amdhsa_user_sgpr_dispatch_id 0
		.amdhsa_user_sgpr_flat_scratch_init 0
		.amdhsa_user_sgpr_kernarg_preload_length 0
		.amdhsa_user_sgpr_kernarg_preload_offset 0
		.amdhsa_user_sgpr_private_segment_size 0
		.amdhsa_uses_dynamic_stack 0
		.amdhsa_system_sgpr_private_segment_wavefront_offset 0
		.amdhsa_system_sgpr_workgroup_id_x 1
		.amdhsa_system_sgpr_workgroup_id_y 0
		.amdhsa_system_sgpr_workgroup_id_z 0
		.amdhsa_system_sgpr_workgroup_info 0
		.amdhsa_system_vgpr_workitem_id 0
		.amdhsa_next_free_vgpr 8
		.amdhsa_next_free_sgpr 24
		.amdhsa_accum_offset 8
		.amdhsa_reserve_vcc 1
		.amdhsa_reserve_flat_scratch 0
		.amdhsa_float_round_mode_32 0
		.amdhsa_float_round_mode_16_64 0
		.amdhsa_float_denorm_mode_32 3
		.amdhsa_float_denorm_mode_16_64 3
		.amdhsa_dx10_clamp 1
		.amdhsa_ieee_mode 1
		.amdhsa_fp16_overflow 0
		.amdhsa_tg_split 0
		.amdhsa_exception_fp_ieee_invalid_op 0
		.amdhsa_exception_fp_denorm_src 0
		.amdhsa_exception_fp_ieee_div_zero 0
		.amdhsa_exception_fp_ieee_overflow 0
		.amdhsa_exception_fp_ieee_underflow 0
		.amdhsa_exception_fp_ieee_inexact 0
		.amdhsa_exception_int_div_zero 0
	.end_amdhsa_kernel
	.section	.text._ZL27rocblas_rotm_kernel_regularILi512EKPfPKfEviPT0_lllS5_lllT1_S6_S6_S6_S6_,"axG",@progbits,_ZL27rocblas_rotm_kernel_regularILi512EKPfPKfEviPT0_lllS5_lllT1_S6_S6_S6_S6_,comdat
.Lfunc_end5:
	.size	_ZL27rocblas_rotm_kernel_regularILi512EKPfPKfEviPT0_lllS5_lllT1_S6_S6_S6_S6_, .Lfunc_end5-_ZL27rocblas_rotm_kernel_regularILi512EKPfPKfEviPT0_lllS5_lllT1_S6_S6_S6_S6_
                                        ; -- End function
	.section	.AMDGPU.csdata,"",@progbits
; Kernel info:
; codeLenInByte = 468
; NumSgprs: 28
; NumVgprs: 8
; NumAgprs: 0
; TotalNumVgprs: 8
; ScratchSize: 0
; MemoryBound: 0
; FloatMode: 240
; IeeeMode: 1
; LDSByteSize: 0 bytes/workgroup (compile time only)
; SGPRBlocks: 3
; VGPRBlocks: 0
; NumSGPRsForWavesPerEU: 28
; NumVGPRsForWavesPerEU: 8
; AccumOffset: 8
; Occupancy: 8
; WaveLimiterHint : 1
; COMPUTE_PGM_RSRC2:SCRATCH_EN: 0
; COMPUTE_PGM_RSRC2:USER_SGPR: 6
; COMPUTE_PGM_RSRC2:TRAP_HANDLER: 0
; COMPUTE_PGM_RSRC2:TGID_X_EN: 1
; COMPUTE_PGM_RSRC2:TGID_Y_EN: 0
; COMPUTE_PGM_RSRC2:TGID_Z_EN: 0
; COMPUTE_PGM_RSRC2:TIDIG_COMP_CNT: 0
; COMPUTE_PGM_RSRC3_GFX90A:ACCUM_OFFSET: 1
; COMPUTE_PGM_RSRC3_GFX90A:TG_SPLIT: 0
	.section	.text._ZL27rocblas_rotm_kernel_batchedILi512EPKPdPKPKdEviT0_lllS7_lllT1_lli,"axG",@progbits,_ZL27rocblas_rotm_kernel_batchedILi512EPKPdPKPKdEviT0_lllS7_lllT1_lli,comdat
	.globl	_ZL27rocblas_rotm_kernel_batchedILi512EPKPdPKPKdEviT0_lllS7_lllT1_lli ; -- Begin function _ZL27rocblas_rotm_kernel_batchedILi512EPKPdPKPKdEviT0_lllS7_lllT1_lli
	.p2align	8
	.type	_ZL27rocblas_rotm_kernel_batchedILi512EPKPdPKPKdEviT0_lllS7_lllT1_lli,@function
_ZL27rocblas_rotm_kernel_batchedILi512EPKPdPKPKdEviT0_lllS7_lllT1_lli: ; @_ZL27rocblas_rotm_kernel_batchedILi512EPKPdPKPKdEviT0_lllS7_lllT1_lli
; %bb.0:
	s_mov_b32 s8, s7
	s_load_dword s20, s[4:5], 0x0
	s_load_dwordx4 s[0:3], s[4:5], 0x48
	s_load_dword s7, s[4:5], 0x74
	s_mov_b32 s9, 0
	s_lshl_b64 s[18:19], s[8:9], 3
	s_waitcnt lgkmcnt(0)
	s_ashr_i32 s21, s20, 31
	s_add_u32 s0, s0, s18
	s_addc_u32 s1, s1, s19
	s_load_dwordx2 s[0:1], s[0:1], 0x0
	s_lshl_b64 s[2:3], s[2:3], 3
	v_mov_b32_e32 v1, 0
	s_waitcnt lgkmcnt(0)
	s_add_u32 s16, s0, s2
	s_addc_u32 s17, s1, s3
	s_load_dwordx8 s[8:15], s[16:17], 0x0
	s_and_b32 s0, s7, 0xffff
	s_mul_i32 s6, s6, s0
	v_add_u32_e32 v0, s6, v0
	v_cmp_gt_i64_e32 vcc, s[20:21], v[0:1]
	s_waitcnt lgkmcnt(0)
	v_cmp_neq_f64_e64 s[0:1], s[8:9], -2.0
	s_and_b64 s[0:1], s[0:1], vcc
	s_and_saveexec_b64 s[2:3], s[0:1]
	s_cbranch_execz .LBB6_9
; %bb.1:
	s_load_dwordx4 s[20:23], s[4:5], 0x28
	s_load_dwordx4 s[0:3], s[4:5], 0x8
	s_load_dwordx2 s[6:7], s[4:5], 0x18
	s_load_dwordx2 s[24:25], s[4:5], 0x38
	s_waitcnt lgkmcnt(0)
	s_add_u32 s4, s20, s18
	s_addc_u32 s5, s21, s19
	s_load_dwordx2 s[4:5], s[4:5], 0x0
	v_mad_u64_u32 v[2:3], s[20:21], v0, s6, 0
	s_lshl_b64 s[20:21], s[22:23], 3
	v_mov_b32_e32 v4, v3
	s_waitcnt lgkmcnt(0)
	s_add_u32 s6, s4, s20
	s_addc_u32 s20, s5, s21
	s_add_u32 s0, s0, s18
	s_addc_u32 s1, s1, s19
	s_load_dwordx2 s[0:1], s[0:1], 0x0
	s_lshl_b64 s[2:3], s[2:3], 3
	v_mad_u64_u32 v[4:5], s[4:5], v0, s7, v[4:5]
	v_mov_b32_e32 v3, v4
	s_waitcnt lgkmcnt(0)
	s_add_u32 s2, s0, s2
	s_addc_u32 s3, s1, s3
	v_mad_u64_u32 v[6:7], s[0:1], v0, s24, 0
	v_mov_b32_e32 v4, v7
	v_mad_u64_u32 v[0:1], s[0:1], v0, s25, v[4:5]
	v_mov_b32_e32 v7, v0
	v_lshlrev_b64 v[0:1], 3, v[2:3]
	v_mov_b32_e32 v2, s3
	v_add_co_u32_e32 v0, vcc, s2, v0
	v_addc_co_u32_e32 v1, vcc, v2, v1, vcc
	v_lshlrev_b64 v[2:3], 3, v[6:7]
	v_mov_b32_e32 v6, s20
	v_add_co_u32_e32 v2, vcc, s6, v2
	v_addc_co_u32_e32 v3, vcc, v6, v3, vcc
	global_load_dwordx2 v[4:5], v[0:1], off
	global_load_dwordx2 v[6:7], v[2:3], off
	s_load_dwordx2 s[0:1], s[16:17], 0x20
	v_cmp_nlt_f64_e64 s[2:3], s[8:9], 0
	s_and_b64 vcc, exec, s[2:3]
	s_cbranch_vccz .LBB6_6
; %bb.2:
	v_cmp_neq_f64_e64 s[4:5], s[8:9], 0
	s_mov_b64 s[2:3], 0
	s_and_b64 vcc, exec, s[4:5]
	s_cbranch_vccz .LBB6_10
; %bb.3:
	s_waitcnt vmcnt(0)
	v_fma_f64 v[8:9], s[10:11], v[4:5], v[6:7]
	global_store_dwordx2 v[0:1], v[8:9], off
	s_waitcnt lgkmcnt(0)
	v_fma_f64 v[8:9], s[0:1], v[6:7], -v[4:5]
	s_andn2_b64 vcc, exec, s[2:3]
	s_cbranch_vccnz .LBB6_5
.LBB6_4:
	s_waitcnt vmcnt(0)
	v_fma_f64 v[8:9], s[14:15], v[6:7], v[4:5]
	global_store_dwordx2 v[0:1], v[8:9], off
	v_fma_f64 v[8:9], s[12:13], v[4:5], v[6:7]
.LBB6_5:
	s_cbranch_execz .LBB6_7
	s_branch .LBB6_8
.LBB6_6:
                                        ; implicit-def: $vgpr8_vgpr9
.LBB6_7:
	s_waitcnt vmcnt(0)
	v_mul_f64 v[8:9], s[14:15], v[6:7]
	v_fmac_f64_e32 v[8:9], s[10:11], v[4:5]
	global_store_dwordx2 v[0:1], v[8:9], off
	s_waitcnt lgkmcnt(0)
	v_mul_f64 v[8:9], s[0:1], v[6:7]
	v_fmac_f64_e32 v[8:9], s[12:13], v[4:5]
.LBB6_8:
	global_store_dwordx2 v[2:3], v[8:9], off
.LBB6_9:
	s_endpgm
.LBB6_10:
                                        ; implicit-def: $vgpr8_vgpr9
	s_branch .LBB6_4
	.section	.rodata,"a",@progbits
	.p2align	6, 0x0
	.amdhsa_kernel _ZL27rocblas_rotm_kernel_batchedILi512EPKPdPKPKdEviT0_lllS7_lllT1_lli
		.amdhsa_group_segment_fixed_size 0
		.amdhsa_private_segment_fixed_size 0
		.amdhsa_kernarg_size 360
		.amdhsa_user_sgpr_count 6
		.amdhsa_user_sgpr_private_segment_buffer 1
		.amdhsa_user_sgpr_dispatch_ptr 0
		.amdhsa_user_sgpr_queue_ptr 0
		.amdhsa_user_sgpr_kernarg_segment_ptr 1
		.amdhsa_user_sgpr_dispatch_id 0
		.amdhsa_user_sgpr_flat_scratch_init 0
		.amdhsa_user_sgpr_kernarg_preload_length 0
		.amdhsa_user_sgpr_kernarg_preload_offset 0
		.amdhsa_user_sgpr_private_segment_size 0
		.amdhsa_uses_dynamic_stack 0
		.amdhsa_system_sgpr_private_segment_wavefront_offset 0
		.amdhsa_system_sgpr_workgroup_id_x 1
		.amdhsa_system_sgpr_workgroup_id_y 0
		.amdhsa_system_sgpr_workgroup_id_z 1
		.amdhsa_system_sgpr_workgroup_info 0
		.amdhsa_system_vgpr_workitem_id 0
		.amdhsa_next_free_vgpr 10
		.amdhsa_next_free_sgpr 26
		.amdhsa_accum_offset 12
		.amdhsa_reserve_vcc 1
		.amdhsa_reserve_flat_scratch 0
		.amdhsa_float_round_mode_32 0
		.amdhsa_float_round_mode_16_64 0
		.amdhsa_float_denorm_mode_32 3
		.amdhsa_float_denorm_mode_16_64 3
		.amdhsa_dx10_clamp 1
		.amdhsa_ieee_mode 1
		.amdhsa_fp16_overflow 0
		.amdhsa_tg_split 0
		.amdhsa_exception_fp_ieee_invalid_op 0
		.amdhsa_exception_fp_denorm_src 0
		.amdhsa_exception_fp_ieee_div_zero 0
		.amdhsa_exception_fp_ieee_overflow 0
		.amdhsa_exception_fp_ieee_underflow 0
		.amdhsa_exception_fp_ieee_inexact 0
		.amdhsa_exception_int_div_zero 0
	.end_amdhsa_kernel
	.section	.text._ZL27rocblas_rotm_kernel_batchedILi512EPKPdPKPKdEviT0_lllS7_lllT1_lli,"axG",@progbits,_ZL27rocblas_rotm_kernel_batchedILi512EPKPdPKPKdEviT0_lllS7_lllT1_lli,comdat
.Lfunc_end6:
	.size	_ZL27rocblas_rotm_kernel_batchedILi512EPKPdPKPKdEviT0_lllS7_lllT1_lli, .Lfunc_end6-_ZL27rocblas_rotm_kernel_batchedILi512EPKPdPKPKdEviT0_lllS7_lllT1_lli
                                        ; -- End function
	.section	.AMDGPU.csdata,"",@progbits
; Kernel info:
; codeLenInByte = 512
; NumSgprs: 30
; NumVgprs: 10
; NumAgprs: 0
; TotalNumVgprs: 10
; ScratchSize: 0
; MemoryBound: 0
; FloatMode: 240
; IeeeMode: 1
; LDSByteSize: 0 bytes/workgroup (compile time only)
; SGPRBlocks: 3
; VGPRBlocks: 1
; NumSGPRsForWavesPerEU: 30
; NumVGPRsForWavesPerEU: 10
; AccumOffset: 12
; Occupancy: 8
; WaveLimiterHint : 1
; COMPUTE_PGM_RSRC2:SCRATCH_EN: 0
; COMPUTE_PGM_RSRC2:USER_SGPR: 6
; COMPUTE_PGM_RSRC2:TRAP_HANDLER: 0
; COMPUTE_PGM_RSRC2:TGID_X_EN: 1
; COMPUTE_PGM_RSRC2:TGID_Y_EN: 0
; COMPUTE_PGM_RSRC2:TGID_Z_EN: 1
; COMPUTE_PGM_RSRC2:TIDIG_COMP_CNT: 0
; COMPUTE_PGM_RSRC3_GFX90A:ACCUM_OFFSET: 2
; COMPUTE_PGM_RSRC3_GFX90A:TG_SPLIT: 0
	.section	.text._ZL27rocblas_rotm_kernel_regularILi512EKPdPKdEviPT0_lllS5_lllT1_S6_S6_S6_S6_,"axG",@progbits,_ZL27rocblas_rotm_kernel_regularILi512EKPdPKdEviPT0_lllS5_lllT1_S6_S6_S6_S6_,comdat
	.globl	_ZL27rocblas_rotm_kernel_regularILi512EKPdPKdEviPT0_lllS5_lllT1_S6_S6_S6_S6_ ; -- Begin function _ZL27rocblas_rotm_kernel_regularILi512EKPdPKdEviPT0_lllS5_lllT1_S6_S6_S6_S6_
	.p2align	8
	.type	_ZL27rocblas_rotm_kernel_regularILi512EKPdPKdEviPT0_lllS5_lllT1_S6_S6_S6_S6_,@function
_ZL27rocblas_rotm_kernel_regularILi512EKPdPKdEviPT0_lllS5_lllT1_S6_S6_S6_S6_: ; @_ZL27rocblas_rotm_kernel_regularILi512EKPdPKdEviPT0_lllS5_lllT1_S6_S6_S6_S6_
; %bb.0:
	s_load_dword s0, s[4:5], 0x0
	s_load_dwordx8 s[8:15], s[4:5], 0x48
	s_load_dword s2, s[4:5], 0x7c
	v_mov_b32_e32 v1, 0
	s_waitcnt lgkmcnt(0)
	s_ashr_i32 s1, s0, 31
	s_load_dwordx2 s[8:9], s[8:9], 0x0
	s_and_b32 s2, s2, 0xffff
	s_mul_i32 s6, s6, s2
	v_add_u32_e32 v0, s6, v0
	v_cmp_gt_i64_e32 vcc, s[0:1], v[0:1]
	s_waitcnt lgkmcnt(0)
	v_cmp_neq_f64_e64 s[0:1], s[8:9], -2.0
	s_and_b64 s[0:1], s[0:1], vcc
	s_and_saveexec_b64 s[2:3], s[0:1]
	s_cbranch_execz .LBB7_9
; %bb.1:
	s_load_dwordx4 s[16:19], s[4:5], 0x28
	s_load_dwordx4 s[0:3], s[4:5], 0x8
	s_load_dwordx2 s[6:7], s[4:5], 0x18
	s_load_dwordx2 s[20:21], s[4:5], 0x38
	s_waitcnt lgkmcnt(0)
	s_lshl_b64 s[18:19], s[18:19], 3
	s_load_dwordx2 s[16:17], s[16:17], 0x0
	v_mad_u64_u32 v[2:3], s[22:23], v0, s6, 0
	s_load_dwordx2 s[0:1], s[0:1], 0x0
	v_mov_b32_e32 v4, v3
	s_waitcnt lgkmcnt(0)
	s_add_u32 s6, s16, s18
	s_addc_u32 s16, s17, s19
	s_lshl_b64 s[2:3], s[2:3], 3
	s_add_u32 s2, s0, s2
	s_addc_u32 s3, s1, s3
	v_mad_u64_u32 v[4:5], s[0:1], v0, s7, v[4:5]
	v_mad_u64_u32 v[6:7], s[0:1], v0, s20, 0
	v_mov_b32_e32 v3, v4
	v_mov_b32_e32 v4, v7
	v_mad_u64_u32 v[0:1], s[0:1], v0, s21, v[4:5]
	v_mov_b32_e32 v7, v0
	v_lshlrev_b64 v[0:1], 3, v[2:3]
	v_mov_b32_e32 v2, s3
	v_add_co_u32_e32 v0, vcc, s2, v0
	v_addc_co_u32_e32 v1, vcc, v2, v1, vcc
	v_lshlrev_b64 v[2:3], 3, v[6:7]
	v_mov_b32_e32 v6, s16
	v_add_co_u32_e32 v2, vcc, s6, v2
	v_addc_co_u32_e32 v3, vcc, v6, v3, vcc
	global_load_dwordx2 v[4:5], v[0:1], off
	global_load_dwordx2 v[6:7], v[2:3], off
	s_load_dwordx2 s[16:17], s[4:5], 0x68
	s_load_dwordx2 s[2:3], s[10:11], 0x0
	;; [unrolled: 1-line block ×4, first 2 shown]
	v_cmp_nlt_f64_e64 s[10:11], s[8:9], 0
	s_waitcnt lgkmcnt(0)
	s_load_dwordx2 s[4:5], s[16:17], 0x0
	s_and_b64 vcc, exec, s[10:11]
	s_cbranch_vccz .LBB7_6
; %bb.2:
	v_cmp_neq_f64_e64 s[8:9], s[8:9], 0
	s_mov_b64 s[10:11], 0
	s_and_b64 vcc, exec, s[8:9]
	s_cbranch_vccz .LBB7_10
; %bb.3:
	s_waitcnt vmcnt(0)
	v_fma_f64 v[8:9], s[2:3], v[4:5], v[6:7]
	global_store_dwordx2 v[0:1], v[8:9], off
	s_waitcnt lgkmcnt(0)
	v_fma_f64 v[8:9], s[4:5], v[6:7], -v[4:5]
	s_andn2_b64 vcc, exec, s[10:11]
	s_cbranch_vccnz .LBB7_5
.LBB7_4:
	s_waitcnt vmcnt(0)
	v_fma_f64 v[8:9], s[6:7], v[6:7], v[4:5]
	global_store_dwordx2 v[0:1], v[8:9], off
	v_fma_f64 v[8:9], s[0:1], v[4:5], v[6:7]
.LBB7_5:
	s_cbranch_execz .LBB7_7
	s_branch .LBB7_8
.LBB7_6:
                                        ; implicit-def: $vgpr8_vgpr9
.LBB7_7:
	s_waitcnt vmcnt(0)
	v_mul_f64 v[8:9], s[6:7], v[6:7]
	v_fmac_f64_e32 v[8:9], s[2:3], v[4:5]
	global_store_dwordx2 v[0:1], v[8:9], off
	s_waitcnt lgkmcnt(0)
	v_mul_f64 v[8:9], s[4:5], v[6:7]
	v_fmac_f64_e32 v[8:9], s[0:1], v[4:5]
.LBB7_8:
	global_store_dwordx2 v[2:3], v[8:9], off
.LBB7_9:
	s_endpgm
.LBB7_10:
                                        ; implicit-def: $vgpr8_vgpr9
	s_branch .LBB7_4
	.section	.rodata,"a",@progbits
	.p2align	6, 0x0
	.amdhsa_kernel _ZL27rocblas_rotm_kernel_regularILi512EKPdPKdEviPT0_lllS5_lllT1_S6_S6_S6_S6_
		.amdhsa_group_segment_fixed_size 0
		.amdhsa_private_segment_fixed_size 0
		.amdhsa_kernarg_size 368
		.amdhsa_user_sgpr_count 6
		.amdhsa_user_sgpr_private_segment_buffer 1
		.amdhsa_user_sgpr_dispatch_ptr 0
		.amdhsa_user_sgpr_queue_ptr 0
		.amdhsa_user_sgpr_kernarg_segment_ptr 1
		.amdhsa_user_sgpr_dispatch_id 0
		.amdhsa_user_sgpr_flat_scratch_init 0
		.amdhsa_user_sgpr_kernarg_preload_length 0
		.amdhsa_user_sgpr_kernarg_preload_offset 0
		.amdhsa_user_sgpr_private_segment_size 0
		.amdhsa_uses_dynamic_stack 0
		.amdhsa_system_sgpr_private_segment_wavefront_offset 0
		.amdhsa_system_sgpr_workgroup_id_x 1
		.amdhsa_system_sgpr_workgroup_id_y 0
		.amdhsa_system_sgpr_workgroup_id_z 0
		.amdhsa_system_sgpr_workgroup_info 0
		.amdhsa_system_vgpr_workitem_id 0
		.amdhsa_next_free_vgpr 10
		.amdhsa_next_free_sgpr 24
		.amdhsa_accum_offset 12
		.amdhsa_reserve_vcc 1
		.amdhsa_reserve_flat_scratch 0
		.amdhsa_float_round_mode_32 0
		.amdhsa_float_round_mode_16_64 0
		.amdhsa_float_denorm_mode_32 3
		.amdhsa_float_denorm_mode_16_64 3
		.amdhsa_dx10_clamp 1
		.amdhsa_ieee_mode 1
		.amdhsa_fp16_overflow 0
		.amdhsa_tg_split 0
		.amdhsa_exception_fp_ieee_invalid_op 0
		.amdhsa_exception_fp_denorm_src 0
		.amdhsa_exception_fp_ieee_div_zero 0
		.amdhsa_exception_fp_ieee_overflow 0
		.amdhsa_exception_fp_ieee_underflow 0
		.amdhsa_exception_fp_ieee_inexact 0
		.amdhsa_exception_int_div_zero 0
	.end_amdhsa_kernel
	.section	.text._ZL27rocblas_rotm_kernel_regularILi512EKPdPKdEviPT0_lllS5_lllT1_S6_S6_S6_S6_,"axG",@progbits,_ZL27rocblas_rotm_kernel_regularILi512EKPdPKdEviPT0_lllS5_lllT1_S6_S6_S6_S6_,comdat
.Lfunc_end7:
	.size	_ZL27rocblas_rotm_kernel_regularILi512EKPdPKdEviPT0_lllS5_lllT1_S6_S6_S6_S6_, .Lfunc_end7-_ZL27rocblas_rotm_kernel_regularILi512EKPdPKdEviPT0_lllS5_lllT1_S6_S6_S6_S6_
                                        ; -- End function
	.section	.AMDGPU.csdata,"",@progbits
; Kernel info:
; codeLenInByte = 484
; NumSgprs: 28
; NumVgprs: 10
; NumAgprs: 0
; TotalNumVgprs: 10
; ScratchSize: 0
; MemoryBound: 0
; FloatMode: 240
; IeeeMode: 1
; LDSByteSize: 0 bytes/workgroup (compile time only)
; SGPRBlocks: 3
; VGPRBlocks: 1
; NumSGPRsForWavesPerEU: 28
; NumVGPRsForWavesPerEU: 10
; AccumOffset: 12
; Occupancy: 8
; WaveLimiterHint : 1
; COMPUTE_PGM_RSRC2:SCRATCH_EN: 0
; COMPUTE_PGM_RSRC2:USER_SGPR: 6
; COMPUTE_PGM_RSRC2:TRAP_HANDLER: 0
; COMPUTE_PGM_RSRC2:TGID_X_EN: 1
; COMPUTE_PGM_RSRC2:TGID_Y_EN: 0
; COMPUTE_PGM_RSRC2:TGID_Z_EN: 0
; COMPUTE_PGM_RSRC2:TIDIG_COMP_CNT: 0
; COMPUTE_PGM_RSRC3_GFX90A:ACCUM_OFFSET: 2
; COMPUTE_PGM_RSRC3_GFX90A:TG_SPLIT: 0
	.text
	.p2alignl 6, 3212836864
	.fill 256, 4, 3212836864
	.type	__hip_cuid_ee659e51fe77d4a5,@object ; @__hip_cuid_ee659e51fe77d4a5
	.section	.bss,"aw",@nobits
	.globl	__hip_cuid_ee659e51fe77d4a5
__hip_cuid_ee659e51fe77d4a5:
	.byte	0                               ; 0x0
	.size	__hip_cuid_ee659e51fe77d4a5, 1

	.ident	"AMD clang version 19.0.0git (https://github.com/RadeonOpenCompute/llvm-project roc-6.4.0 25133 c7fe45cf4b819c5991fe208aaa96edf142730f1d)"
	.section	".note.GNU-stack","",@progbits
	.addrsig
	.addrsig_sym __hip_cuid_ee659e51fe77d4a5
	.amdgpu_metadata
---
amdhsa.kernels:
  - .agpr_count:     0
    .args:
      - .offset:         0
        .size:           4
        .value_kind:     by_value
      - .address_space:  global
        .offset:         8
        .size:           8
        .value_kind:     global_buffer
      - .offset:         16
        .size:           8
        .value_kind:     by_value
      - .offset:         24
        .size:           8
        .value_kind:     by_value
      - .offset:         32
        .size:           8
        .value_kind:     by_value
      - .address_space:  global
        .offset:         40
        .size:           8
        .value_kind:     global_buffer
      - .offset:         48
        .size:           8
        .value_kind:     by_value
      - .offset:         56
        .size:           8
        .value_kind:     by_value
      - .offset:         64
        .size:           8
        .value_kind:     by_value
      - .address_space:  global
        .offset:         72
        .size:           8
        .value_kind:     global_buffer
      - .offset:         80
        .size:           8
        .value_kind:     by_value
      - .offset:         88
        .size:           8
        .value_kind:     by_value
      - .offset:         96
        .size:           4
        .value_kind:     by_value
      - .offset:         104
        .size:           4
        .value_kind:     hidden_block_count_x
      - .offset:         108
        .size:           4
        .value_kind:     hidden_block_count_y
      - .offset:         112
        .size:           4
        .value_kind:     hidden_block_count_z
      - .offset:         116
        .size:           2
        .value_kind:     hidden_group_size_x
      - .offset:         118
        .size:           2
        .value_kind:     hidden_group_size_y
      - .offset:         120
        .size:           2
        .value_kind:     hidden_group_size_z
      - .offset:         122
        .size:           2
        .value_kind:     hidden_remainder_x
      - .offset:         124
        .size:           2
        .value_kind:     hidden_remainder_y
      - .offset:         126
        .size:           2
        .value_kind:     hidden_remainder_z
      - .offset:         144
        .size:           8
        .value_kind:     hidden_global_offset_x
      - .offset:         152
        .size:           8
        .value_kind:     hidden_global_offset_y
      - .offset:         160
        .size:           8
        .value_kind:     hidden_global_offset_z
      - .offset:         168
        .size:           2
        .value_kind:     hidden_grid_dims
    .group_segment_fixed_size: 0
    .kernarg_segment_align: 8
    .kernarg_segment_size: 360
    .language:       OpenCL C
    .language_version:
      - 2
      - 0
    .max_flat_workgroup_size: 512
    .name:           _ZL27rocblas_rotm_kernel_batchedILi512EPfPKfEviT0_lllS3_lllT1_lli
    .private_segment_fixed_size: 0
    .sgpr_count:     30
    .sgpr_spill_count: 0
    .symbol:         _ZL27rocblas_rotm_kernel_batchedILi512EPfPKfEviT0_lllS3_lllT1_lli.kd
    .uniform_work_group_size: 1
    .uses_dynamic_stack: false
    .vgpr_count:     8
    .vgpr_spill_count: 0
    .wavefront_size: 64
  - .agpr_count:     0
    .args:
      - .offset:         0
        .size:           4
        .value_kind:     by_value
      - .address_space:  global
        .offset:         8
        .size:           8
        .value_kind:     global_buffer
      - .offset:         16
        .size:           8
        .value_kind:     by_value
      - .offset:         24
        .size:           8
        .value_kind:     by_value
      - .offset:         32
        .size:           8
        .value_kind:     by_value
      - .address_space:  global
        .offset:         40
        .size:           8
        .value_kind:     global_buffer
      - .offset:         48
        .size:           8
        .value_kind:     by_value
      - .offset:         56
        .size:           8
        .value_kind:     by_value
      - .offset:         64
        .size:           8
        .value_kind:     by_value
      - .offset:         72
        .size:           4
        .value_kind:     by_value
      - .offset:         76
        .size:           4
        .value_kind:     by_value
      - .offset:         80
        .size:           4
        .value_kind:     by_value
      - .offset:         84
        .size:           4
        .value_kind:     by_value
      - .offset:         88
        .size:           4
        .value_kind:     by_value
      - .offset:         96
        .size:           4
        .value_kind:     hidden_block_count_x
      - .offset:         100
        .size:           4
        .value_kind:     hidden_block_count_y
      - .offset:         104
        .size:           4
        .value_kind:     hidden_block_count_z
      - .offset:         108
        .size:           2
        .value_kind:     hidden_group_size_x
      - .offset:         110
        .size:           2
        .value_kind:     hidden_group_size_y
      - .offset:         112
        .size:           2
        .value_kind:     hidden_group_size_z
      - .offset:         114
        .size:           2
        .value_kind:     hidden_remainder_x
      - .offset:         116
        .size:           2
        .value_kind:     hidden_remainder_y
      - .offset:         118
        .size:           2
        .value_kind:     hidden_remainder_z
      - .offset:         136
        .size:           8
        .value_kind:     hidden_global_offset_x
      - .offset:         144
        .size:           8
        .value_kind:     hidden_global_offset_y
      - .offset:         152
        .size:           8
        .value_kind:     hidden_global_offset_z
      - .offset:         160
        .size:           2
        .value_kind:     hidden_grid_dims
    .group_segment_fixed_size: 0
    .kernarg_segment_align: 8
    .kernarg_segment_size: 352
    .language:       OpenCL C
    .language_version:
      - 2
      - 0
    .max_flat_workgroup_size: 512
    .name:           _ZL27rocblas_rotm_kernel_regularILi512EffEviPT0_lllS1_lllT1_S2_S2_S2_S2_
    .private_segment_fixed_size: 0
    .sgpr_count:     22
    .sgpr_spill_count: 0
    .symbol:         _ZL27rocblas_rotm_kernel_regularILi512EffEviPT0_lllS1_lllT1_S2_S2_S2_S2_.kd
    .uniform_work_group_size: 1
    .uses_dynamic_stack: false
    .vgpr_count:     8
    .vgpr_spill_count: 0
    .wavefront_size: 64
  - .agpr_count:     0
    .args:
      - .offset:         0
        .size:           4
        .value_kind:     by_value
      - .address_space:  global
        .offset:         8
        .size:           8
        .value_kind:     global_buffer
      - .offset:         16
        .size:           8
        .value_kind:     by_value
      - .offset:         24
        .size:           8
        .value_kind:     by_value
      - .offset:         32
        .size:           8
        .value_kind:     by_value
      - .address_space:  global
        .offset:         40
        .size:           8
        .value_kind:     global_buffer
      - .offset:         48
        .size:           8
        .value_kind:     by_value
      - .offset:         56
        .size:           8
        .value_kind:     by_value
      - .offset:         64
        .size:           8
        .value_kind:     by_value
      - .address_space:  global
        .offset:         72
        .size:           8
        .value_kind:     global_buffer
      - .offset:         80
        .size:           8
        .value_kind:     by_value
      - .offset:         88
        .size:           8
        .value_kind:     by_value
      - .offset:         96
        .size:           4
        .value_kind:     by_value
      - .offset:         104
        .size:           4
        .value_kind:     hidden_block_count_x
      - .offset:         108
        .size:           4
        .value_kind:     hidden_block_count_y
      - .offset:         112
        .size:           4
        .value_kind:     hidden_block_count_z
      - .offset:         116
        .size:           2
        .value_kind:     hidden_group_size_x
      - .offset:         118
        .size:           2
        .value_kind:     hidden_group_size_y
      - .offset:         120
        .size:           2
        .value_kind:     hidden_group_size_z
      - .offset:         122
        .size:           2
        .value_kind:     hidden_remainder_x
      - .offset:         124
        .size:           2
        .value_kind:     hidden_remainder_y
      - .offset:         126
        .size:           2
        .value_kind:     hidden_remainder_z
      - .offset:         144
        .size:           8
        .value_kind:     hidden_global_offset_x
      - .offset:         152
        .size:           8
        .value_kind:     hidden_global_offset_y
      - .offset:         160
        .size:           8
        .value_kind:     hidden_global_offset_z
      - .offset:         168
        .size:           2
        .value_kind:     hidden_grid_dims
    .group_segment_fixed_size: 0
    .kernarg_segment_align: 8
    .kernarg_segment_size: 360
    .language:       OpenCL C
    .language_version:
      - 2
      - 0
    .max_flat_workgroup_size: 512
    .name:           _ZL27rocblas_rotm_kernel_batchedILi512EPdPKdEviT0_lllS3_lllT1_lli
    .private_segment_fixed_size: 0
    .sgpr_count:     36
    .sgpr_spill_count: 0
    .symbol:         _ZL27rocblas_rotm_kernel_batchedILi512EPdPKdEviT0_lllS3_lllT1_lli.kd
    .uniform_work_group_size: 1
    .uses_dynamic_stack: false
    .vgpr_count:     10
    .vgpr_spill_count: 0
    .wavefront_size: 64
  - .agpr_count:     0
    .args:
      - .offset:         0
        .size:           4
        .value_kind:     by_value
      - .address_space:  global
        .offset:         8
        .size:           8
        .value_kind:     global_buffer
      - .offset:         16
        .size:           8
        .value_kind:     by_value
      - .offset:         24
        .size:           8
        .value_kind:     by_value
      - .offset:         32
        .size:           8
        .value_kind:     by_value
      - .address_space:  global
        .offset:         40
        .size:           8
        .value_kind:     global_buffer
      - .offset:         48
        .size:           8
        .value_kind:     by_value
      - .offset:         56
        .size:           8
        .value_kind:     by_value
      - .offset:         64
        .size:           8
        .value_kind:     by_value
      - .offset:         72
        .size:           8
        .value_kind:     by_value
      - .offset:         80
        .size:           8
        .value_kind:     by_value
      - .offset:         88
        .size:           8
        .value_kind:     by_value
      - .offset:         96
        .size:           8
        .value_kind:     by_value
      - .offset:         104
        .size:           8
        .value_kind:     by_value
      - .offset:         112
        .size:           4
        .value_kind:     hidden_block_count_x
      - .offset:         116
        .size:           4
        .value_kind:     hidden_block_count_y
      - .offset:         120
        .size:           4
        .value_kind:     hidden_block_count_z
      - .offset:         124
        .size:           2
        .value_kind:     hidden_group_size_x
      - .offset:         126
        .size:           2
        .value_kind:     hidden_group_size_y
      - .offset:         128
        .size:           2
        .value_kind:     hidden_group_size_z
      - .offset:         130
        .size:           2
        .value_kind:     hidden_remainder_x
      - .offset:         132
        .size:           2
        .value_kind:     hidden_remainder_y
      - .offset:         134
        .size:           2
        .value_kind:     hidden_remainder_z
      - .offset:         152
        .size:           8
        .value_kind:     hidden_global_offset_x
      - .offset:         160
        .size:           8
        .value_kind:     hidden_global_offset_y
      - .offset:         168
        .size:           8
        .value_kind:     hidden_global_offset_z
      - .offset:         176
        .size:           2
        .value_kind:     hidden_grid_dims
    .group_segment_fixed_size: 0
    .kernarg_segment_align: 8
    .kernarg_segment_size: 368
    .language:       OpenCL C
    .language_version:
      - 2
      - 0
    .max_flat_workgroup_size: 512
    .name:           _ZL27rocblas_rotm_kernel_regularILi512EddEviPT0_lllS1_lllT1_S2_S2_S2_S2_
    .private_segment_fixed_size: 0
    .sgpr_count:     26
    .sgpr_spill_count: 0
    .symbol:         _ZL27rocblas_rotm_kernel_regularILi512EddEviPT0_lllS1_lllT1_S2_S2_S2_S2_.kd
    .uniform_work_group_size: 1
    .uses_dynamic_stack: false
    .vgpr_count:     10
    .vgpr_spill_count: 0
    .wavefront_size: 64
  - .agpr_count:     0
    .args:
      - .offset:         0
        .size:           4
        .value_kind:     by_value
      - .address_space:  global
        .offset:         8
        .size:           8
        .value_kind:     global_buffer
      - .offset:         16
        .size:           8
        .value_kind:     by_value
      - .offset:         24
        .size:           8
        .value_kind:     by_value
      - .offset:         32
        .size:           8
        .value_kind:     by_value
      - .address_space:  global
        .offset:         40
        .size:           8
        .value_kind:     global_buffer
      - .offset:         48
        .size:           8
        .value_kind:     by_value
      - .offset:         56
        .size:           8
        .value_kind:     by_value
      - .offset:         64
        .size:           8
        .value_kind:     by_value
      - .address_space:  global
        .offset:         72
        .size:           8
        .value_kind:     global_buffer
      - .offset:         80
        .size:           8
        .value_kind:     by_value
      - .offset:         88
        .size:           8
        .value_kind:     by_value
      - .offset:         96
        .size:           4
        .value_kind:     by_value
      - .offset:         104
        .size:           4
        .value_kind:     hidden_block_count_x
      - .offset:         108
        .size:           4
        .value_kind:     hidden_block_count_y
      - .offset:         112
        .size:           4
        .value_kind:     hidden_block_count_z
      - .offset:         116
        .size:           2
        .value_kind:     hidden_group_size_x
      - .offset:         118
        .size:           2
        .value_kind:     hidden_group_size_y
      - .offset:         120
        .size:           2
        .value_kind:     hidden_group_size_z
      - .offset:         122
        .size:           2
        .value_kind:     hidden_remainder_x
      - .offset:         124
        .size:           2
        .value_kind:     hidden_remainder_y
      - .offset:         126
        .size:           2
        .value_kind:     hidden_remainder_z
      - .offset:         144
        .size:           8
        .value_kind:     hidden_global_offset_x
      - .offset:         152
        .size:           8
        .value_kind:     hidden_global_offset_y
      - .offset:         160
        .size:           8
        .value_kind:     hidden_global_offset_z
      - .offset:         168
        .size:           2
        .value_kind:     hidden_grid_dims
    .group_segment_fixed_size: 0
    .kernarg_segment_align: 8
    .kernarg_segment_size: 360
    .language:       OpenCL C
    .language_version:
      - 2
      - 0
    .max_flat_workgroup_size: 512
    .name:           _ZL27rocblas_rotm_kernel_batchedILi512EPKPfPKPKfEviT0_lllS7_lllT1_lli
    .private_segment_fixed_size: 0
    .sgpr_count:     26
    .sgpr_spill_count: 0
    .symbol:         _ZL27rocblas_rotm_kernel_batchedILi512EPKPfPKPKfEviT0_lllS7_lllT1_lli.kd
    .uniform_work_group_size: 1
    .uses_dynamic_stack: false
    .vgpr_count:     8
    .vgpr_spill_count: 0
    .wavefront_size: 64
  - .agpr_count:     0
    .args:
      - .offset:         0
        .size:           4
        .value_kind:     by_value
      - .address_space:  global
        .offset:         8
        .size:           8
        .value_kind:     global_buffer
      - .offset:         16
        .size:           8
        .value_kind:     by_value
      - .offset:         24
        .size:           8
        .value_kind:     by_value
      - .offset:         32
        .size:           8
        .value_kind:     by_value
      - .address_space:  global
        .offset:         40
        .size:           8
        .value_kind:     global_buffer
      - .offset:         48
        .size:           8
        .value_kind:     by_value
      - .offset:         56
        .size:           8
        .value_kind:     by_value
      - .offset:         64
        .size:           8
        .value_kind:     by_value
      - .address_space:  global
        .offset:         72
        .size:           8
        .value_kind:     global_buffer
      - .address_space:  global
        .offset:         80
        .size:           8
        .value_kind:     global_buffer
      - .address_space:  global
        .offset:         88
        .size:           8
        .value_kind:     global_buffer
      - .address_space:  global
        .offset:         96
        .size:           8
        .value_kind:     global_buffer
      - .address_space:  global
        .offset:         104
        .size:           8
        .value_kind:     global_buffer
      - .offset:         112
        .size:           4
        .value_kind:     hidden_block_count_x
      - .offset:         116
        .size:           4
        .value_kind:     hidden_block_count_y
      - .offset:         120
        .size:           4
        .value_kind:     hidden_block_count_z
      - .offset:         124
        .size:           2
        .value_kind:     hidden_group_size_x
      - .offset:         126
        .size:           2
        .value_kind:     hidden_group_size_y
      - .offset:         128
        .size:           2
        .value_kind:     hidden_group_size_z
      - .offset:         130
        .size:           2
        .value_kind:     hidden_remainder_x
      - .offset:         132
        .size:           2
        .value_kind:     hidden_remainder_y
      - .offset:         134
        .size:           2
        .value_kind:     hidden_remainder_z
      - .offset:         152
        .size:           8
        .value_kind:     hidden_global_offset_x
      - .offset:         160
        .size:           8
        .value_kind:     hidden_global_offset_y
      - .offset:         168
        .size:           8
        .value_kind:     hidden_global_offset_z
      - .offset:         176
        .size:           2
        .value_kind:     hidden_grid_dims
    .group_segment_fixed_size: 0
    .kernarg_segment_align: 8
    .kernarg_segment_size: 368
    .language:       OpenCL C
    .language_version:
      - 2
      - 0
    .max_flat_workgroup_size: 512
    .name:           _ZL27rocblas_rotm_kernel_regularILi512EKPfPKfEviPT0_lllS5_lllT1_S6_S6_S6_S6_
    .private_segment_fixed_size: 0
    .sgpr_count:     28
    .sgpr_spill_count: 0
    .symbol:         _ZL27rocblas_rotm_kernel_regularILi512EKPfPKfEviPT0_lllS5_lllT1_S6_S6_S6_S6_.kd
    .uniform_work_group_size: 1
    .uses_dynamic_stack: false
    .vgpr_count:     8
    .vgpr_spill_count: 0
    .wavefront_size: 64
  - .agpr_count:     0
    .args:
      - .offset:         0
        .size:           4
        .value_kind:     by_value
      - .address_space:  global
        .offset:         8
        .size:           8
        .value_kind:     global_buffer
      - .offset:         16
        .size:           8
        .value_kind:     by_value
      - .offset:         24
        .size:           8
        .value_kind:     by_value
      - .offset:         32
        .size:           8
        .value_kind:     by_value
      - .address_space:  global
        .offset:         40
        .size:           8
        .value_kind:     global_buffer
      - .offset:         48
        .size:           8
        .value_kind:     by_value
      - .offset:         56
        .size:           8
        .value_kind:     by_value
      - .offset:         64
        .size:           8
        .value_kind:     by_value
      - .address_space:  global
        .offset:         72
        .size:           8
        .value_kind:     global_buffer
      - .offset:         80
        .size:           8
        .value_kind:     by_value
      - .offset:         88
        .size:           8
        .value_kind:     by_value
      - .offset:         96
        .size:           4
        .value_kind:     by_value
      - .offset:         104
        .size:           4
        .value_kind:     hidden_block_count_x
      - .offset:         108
        .size:           4
        .value_kind:     hidden_block_count_y
      - .offset:         112
        .size:           4
        .value_kind:     hidden_block_count_z
      - .offset:         116
        .size:           2
        .value_kind:     hidden_group_size_x
      - .offset:         118
        .size:           2
        .value_kind:     hidden_group_size_y
      - .offset:         120
        .size:           2
        .value_kind:     hidden_group_size_z
      - .offset:         122
        .size:           2
        .value_kind:     hidden_remainder_x
      - .offset:         124
        .size:           2
        .value_kind:     hidden_remainder_y
      - .offset:         126
        .size:           2
        .value_kind:     hidden_remainder_z
      - .offset:         144
        .size:           8
        .value_kind:     hidden_global_offset_x
      - .offset:         152
        .size:           8
        .value_kind:     hidden_global_offset_y
      - .offset:         160
        .size:           8
        .value_kind:     hidden_global_offset_z
      - .offset:         168
        .size:           2
        .value_kind:     hidden_grid_dims
    .group_segment_fixed_size: 0
    .kernarg_segment_align: 8
    .kernarg_segment_size: 360
    .language:       OpenCL C
    .language_version:
      - 2
      - 0
    .max_flat_workgroup_size: 512
    .name:           _ZL27rocblas_rotm_kernel_batchedILi512EPKPdPKPKdEviT0_lllS7_lllT1_lli
    .private_segment_fixed_size: 0
    .sgpr_count:     30
    .sgpr_spill_count: 0
    .symbol:         _ZL27rocblas_rotm_kernel_batchedILi512EPKPdPKPKdEviT0_lllS7_lllT1_lli.kd
    .uniform_work_group_size: 1
    .uses_dynamic_stack: false
    .vgpr_count:     10
    .vgpr_spill_count: 0
    .wavefront_size: 64
  - .agpr_count:     0
    .args:
      - .offset:         0
        .size:           4
        .value_kind:     by_value
      - .address_space:  global
        .offset:         8
        .size:           8
        .value_kind:     global_buffer
      - .offset:         16
        .size:           8
        .value_kind:     by_value
      - .offset:         24
        .size:           8
        .value_kind:     by_value
      - .offset:         32
        .size:           8
        .value_kind:     by_value
      - .address_space:  global
        .offset:         40
        .size:           8
        .value_kind:     global_buffer
      - .offset:         48
        .size:           8
        .value_kind:     by_value
      - .offset:         56
        .size:           8
        .value_kind:     by_value
      - .offset:         64
        .size:           8
        .value_kind:     by_value
      - .address_space:  global
        .offset:         72
        .size:           8
        .value_kind:     global_buffer
      - .address_space:  global
        .offset:         80
        .size:           8
        .value_kind:     global_buffer
      - .address_space:  global
        .offset:         88
        .size:           8
        .value_kind:     global_buffer
      - .address_space:  global
        .offset:         96
        .size:           8
        .value_kind:     global_buffer
      - .address_space:  global
        .offset:         104
        .size:           8
        .value_kind:     global_buffer
      - .offset:         112
        .size:           4
        .value_kind:     hidden_block_count_x
      - .offset:         116
        .size:           4
        .value_kind:     hidden_block_count_y
      - .offset:         120
        .size:           4
        .value_kind:     hidden_block_count_z
      - .offset:         124
        .size:           2
        .value_kind:     hidden_group_size_x
      - .offset:         126
        .size:           2
        .value_kind:     hidden_group_size_y
      - .offset:         128
        .size:           2
        .value_kind:     hidden_group_size_z
      - .offset:         130
        .size:           2
        .value_kind:     hidden_remainder_x
      - .offset:         132
        .size:           2
        .value_kind:     hidden_remainder_y
      - .offset:         134
        .size:           2
        .value_kind:     hidden_remainder_z
      - .offset:         152
        .size:           8
        .value_kind:     hidden_global_offset_x
      - .offset:         160
        .size:           8
        .value_kind:     hidden_global_offset_y
      - .offset:         168
        .size:           8
        .value_kind:     hidden_global_offset_z
      - .offset:         176
        .size:           2
        .value_kind:     hidden_grid_dims
    .group_segment_fixed_size: 0
    .kernarg_segment_align: 8
    .kernarg_segment_size: 368
    .language:       OpenCL C
    .language_version:
      - 2
      - 0
    .max_flat_workgroup_size: 512
    .name:           _ZL27rocblas_rotm_kernel_regularILi512EKPdPKdEviPT0_lllS5_lllT1_S6_S6_S6_S6_
    .private_segment_fixed_size: 0
    .sgpr_count:     28
    .sgpr_spill_count: 0
    .symbol:         _ZL27rocblas_rotm_kernel_regularILi512EKPdPKdEviPT0_lllS5_lllT1_S6_S6_S6_S6_.kd
    .uniform_work_group_size: 1
    .uses_dynamic_stack: false
    .vgpr_count:     10
    .vgpr_spill_count: 0
    .wavefront_size: 64
amdhsa.target:   amdgcn-amd-amdhsa--gfx90a
amdhsa.version:
  - 1
  - 2
...

	.end_amdgpu_metadata
